;; amdgpu-corpus repo=ROCm/rocFFT kind=compiled arch=gfx906 opt=O3
	.text
	.amdgcn_target "amdgcn-amd-amdhsa--gfx906"
	.amdhsa_code_object_version 6
	.protected	fft_rtc_fwd_len2880_factors_10_6_6_2_2_2_wgs_96_tpt_96_halfLds_dp_ip_CI_sbrr_dirReg ; -- Begin function fft_rtc_fwd_len2880_factors_10_6_6_2_2_2_wgs_96_tpt_96_halfLds_dp_ip_CI_sbrr_dirReg
	.globl	fft_rtc_fwd_len2880_factors_10_6_6_2_2_2_wgs_96_tpt_96_halfLds_dp_ip_CI_sbrr_dirReg
	.p2align	8
	.type	fft_rtc_fwd_len2880_factors_10_6_6_2_2_2_wgs_96_tpt_96_halfLds_dp_ip_CI_sbrr_dirReg,@function
fft_rtc_fwd_len2880_factors_10_6_6_2_2_2_wgs_96_tpt_96_halfLds_dp_ip_CI_sbrr_dirReg: ; @fft_rtc_fwd_len2880_factors_10_6_6_2_2_2_wgs_96_tpt_96_halfLds_dp_ip_CI_sbrr_dirReg
; %bb.0:
	s_load_dwordx2 s[14:15], s[4:5], 0x18
	s_load_dwordx4 s[8:11], s[4:5], 0x0
	s_load_dwordx2 s[12:13], s[4:5], 0x50
	v_mul_u32_u24_e32 v1, 0x2ab, v0
	v_add_u32_sdwa v5, s6, v1 dst_sel:DWORD dst_unused:UNUSED_PAD src0_sel:DWORD src1_sel:WORD_1
	s_waitcnt lgkmcnt(0)
	s_load_dwordx2 s[2:3], s[14:15], 0x0
	v_cmp_lt_u64_e64 s[0:1], s[10:11], 2
	v_mov_b32_e32 v3, 0
	v_mov_b32_e32 v1, 0
	;; [unrolled: 1-line block ×3, first 2 shown]
	s_and_b64 vcc, exec, s[0:1]
	v_mov_b32_e32 v2, 0
	s_cbranch_vccnz .LBB0_8
; %bb.1:
	s_load_dwordx2 s[0:1], s[4:5], 0x10
	s_add_u32 s6, s14, 8
	s_addc_u32 s7, s15, 0
	v_mov_b32_e32 v1, 0
	v_mov_b32_e32 v2, 0
	s_waitcnt lgkmcnt(0)
	s_add_u32 s16, s0, 8
	s_addc_u32 s17, s1, 0
	s_mov_b64 s[18:19], 1
.LBB0_2:                                ; =>This Inner Loop Header: Depth=1
	s_load_dwordx2 s[20:21], s[16:17], 0x0
                                        ; implicit-def: $vgpr7_vgpr8
	s_waitcnt lgkmcnt(0)
	v_or_b32_e32 v4, s21, v6
	v_cmp_ne_u64_e32 vcc, 0, v[3:4]
	s_and_saveexec_b64 s[0:1], vcc
	s_xor_b64 s[22:23], exec, s[0:1]
	s_cbranch_execz .LBB0_4
; %bb.3:                                ;   in Loop: Header=BB0_2 Depth=1
	v_cvt_f32_u32_e32 v4, s20
	v_cvt_f32_u32_e32 v7, s21
	s_sub_u32 s0, 0, s20
	s_subb_u32 s1, 0, s21
	v_mac_f32_e32 v4, 0x4f800000, v7
	v_rcp_f32_e32 v4, v4
	v_mul_f32_e32 v4, 0x5f7ffffc, v4
	v_mul_f32_e32 v7, 0x2f800000, v4
	v_trunc_f32_e32 v7, v7
	v_mac_f32_e32 v4, 0xcf800000, v7
	v_cvt_u32_f32_e32 v7, v7
	v_cvt_u32_f32_e32 v4, v4
	v_mul_lo_u32 v8, s0, v7
	v_mul_hi_u32 v9, s0, v4
	v_mul_lo_u32 v11, s1, v4
	v_mul_lo_u32 v10, s0, v4
	v_add_u32_e32 v8, v9, v8
	v_add_u32_e32 v8, v8, v11
	v_mul_hi_u32 v9, v4, v10
	v_mul_lo_u32 v11, v4, v8
	v_mul_hi_u32 v13, v4, v8
	v_mul_hi_u32 v12, v7, v10
	v_mul_lo_u32 v10, v7, v10
	v_mul_hi_u32 v14, v7, v8
	v_add_co_u32_e32 v9, vcc, v9, v11
	v_addc_co_u32_e32 v11, vcc, 0, v13, vcc
	v_mul_lo_u32 v8, v7, v8
	v_add_co_u32_e32 v9, vcc, v9, v10
	v_addc_co_u32_e32 v9, vcc, v11, v12, vcc
	v_addc_co_u32_e32 v10, vcc, 0, v14, vcc
	v_add_co_u32_e32 v8, vcc, v9, v8
	v_addc_co_u32_e32 v9, vcc, 0, v10, vcc
	v_add_co_u32_e32 v4, vcc, v4, v8
	v_addc_co_u32_e32 v7, vcc, v7, v9, vcc
	v_mul_lo_u32 v8, s0, v7
	v_mul_hi_u32 v9, s0, v4
	v_mul_lo_u32 v10, s1, v4
	v_mul_lo_u32 v11, s0, v4
	v_add_u32_e32 v8, v9, v8
	v_add_u32_e32 v8, v8, v10
	v_mul_lo_u32 v12, v4, v8
	v_mul_hi_u32 v13, v4, v11
	v_mul_hi_u32 v14, v4, v8
	;; [unrolled: 1-line block ×3, first 2 shown]
	v_mul_lo_u32 v11, v7, v11
	v_mul_hi_u32 v9, v7, v8
	v_add_co_u32_e32 v12, vcc, v13, v12
	v_addc_co_u32_e32 v13, vcc, 0, v14, vcc
	v_mul_lo_u32 v8, v7, v8
	v_add_co_u32_e32 v11, vcc, v12, v11
	v_addc_co_u32_e32 v10, vcc, v13, v10, vcc
	v_addc_co_u32_e32 v9, vcc, 0, v9, vcc
	v_add_co_u32_e32 v8, vcc, v10, v8
	v_addc_co_u32_e32 v9, vcc, 0, v9, vcc
	v_add_co_u32_e32 v4, vcc, v4, v8
	v_addc_co_u32_e32 v9, vcc, v7, v9, vcc
	v_mad_u64_u32 v[7:8], s[0:1], v5, v9, 0
	v_mul_hi_u32 v10, v5, v4
	v_add_co_u32_e32 v11, vcc, v10, v7
	v_addc_co_u32_e32 v12, vcc, 0, v8, vcc
	v_mad_u64_u32 v[7:8], s[0:1], v6, v4, 0
	v_mad_u64_u32 v[9:10], s[0:1], v6, v9, 0
	v_add_co_u32_e32 v4, vcc, v11, v7
	v_addc_co_u32_e32 v4, vcc, v12, v8, vcc
	v_addc_co_u32_e32 v7, vcc, 0, v10, vcc
	v_add_co_u32_e32 v4, vcc, v4, v9
	v_addc_co_u32_e32 v9, vcc, 0, v7, vcc
	v_mul_lo_u32 v10, s21, v4
	v_mul_lo_u32 v11, s20, v9
	v_mad_u64_u32 v[7:8], s[0:1], s20, v4, 0
	v_add3_u32 v8, v8, v11, v10
	v_sub_u32_e32 v10, v6, v8
	v_mov_b32_e32 v11, s21
	v_sub_co_u32_e32 v7, vcc, v5, v7
	v_subb_co_u32_e64 v10, s[0:1], v10, v11, vcc
	v_subrev_co_u32_e64 v11, s[0:1], s20, v7
	v_subbrev_co_u32_e64 v10, s[0:1], 0, v10, s[0:1]
	v_cmp_le_u32_e64 s[0:1], s21, v10
	v_cndmask_b32_e64 v12, 0, -1, s[0:1]
	v_cmp_le_u32_e64 s[0:1], s20, v11
	v_cndmask_b32_e64 v11, 0, -1, s[0:1]
	v_cmp_eq_u32_e64 s[0:1], s21, v10
	v_cndmask_b32_e64 v10, v12, v11, s[0:1]
	v_add_co_u32_e64 v11, s[0:1], 2, v4
	v_addc_co_u32_e64 v12, s[0:1], 0, v9, s[0:1]
	v_add_co_u32_e64 v13, s[0:1], 1, v4
	v_addc_co_u32_e64 v14, s[0:1], 0, v9, s[0:1]
	v_subb_co_u32_e32 v8, vcc, v6, v8, vcc
	v_cmp_ne_u32_e64 s[0:1], 0, v10
	v_cmp_le_u32_e32 vcc, s21, v8
	v_cndmask_b32_e64 v10, v14, v12, s[0:1]
	v_cndmask_b32_e64 v12, 0, -1, vcc
	v_cmp_le_u32_e32 vcc, s20, v7
	v_cndmask_b32_e64 v7, 0, -1, vcc
	v_cmp_eq_u32_e32 vcc, s21, v8
	v_cndmask_b32_e32 v7, v12, v7, vcc
	v_cmp_ne_u32_e32 vcc, 0, v7
	v_cndmask_b32_e64 v7, v13, v11, s[0:1]
	v_cndmask_b32_e32 v8, v9, v10, vcc
	v_cndmask_b32_e32 v7, v4, v7, vcc
.LBB0_4:                                ;   in Loop: Header=BB0_2 Depth=1
	s_andn2_saveexec_b64 s[0:1], s[22:23]
	s_cbranch_execz .LBB0_6
; %bb.5:                                ;   in Loop: Header=BB0_2 Depth=1
	v_cvt_f32_u32_e32 v4, s20
	s_sub_i32 s22, 0, s20
	v_rcp_iflag_f32_e32 v4, v4
	v_mul_f32_e32 v4, 0x4f7ffffe, v4
	v_cvt_u32_f32_e32 v4, v4
	v_mul_lo_u32 v7, s22, v4
	v_mul_hi_u32 v7, v4, v7
	v_add_u32_e32 v4, v4, v7
	v_mul_hi_u32 v4, v5, v4
	v_mul_lo_u32 v7, v4, s20
	v_add_u32_e32 v8, 1, v4
	v_sub_u32_e32 v7, v5, v7
	v_subrev_u32_e32 v9, s20, v7
	v_cmp_le_u32_e32 vcc, s20, v7
	v_cndmask_b32_e32 v7, v7, v9, vcc
	v_cndmask_b32_e32 v4, v4, v8, vcc
	v_add_u32_e32 v8, 1, v4
	v_cmp_le_u32_e32 vcc, s20, v7
	v_cndmask_b32_e32 v7, v4, v8, vcc
	v_mov_b32_e32 v8, v3
.LBB0_6:                                ;   in Loop: Header=BB0_2 Depth=1
	s_or_b64 exec, exec, s[0:1]
	v_mul_lo_u32 v4, v8, s20
	v_mul_lo_u32 v11, v7, s21
	v_mad_u64_u32 v[9:10], s[0:1], v7, s20, 0
	s_load_dwordx2 s[0:1], s[6:7], 0x0
	s_add_u32 s18, s18, 1
	v_add3_u32 v4, v10, v11, v4
	v_sub_co_u32_e32 v5, vcc, v5, v9
	v_subb_co_u32_e32 v4, vcc, v6, v4, vcc
	s_waitcnt lgkmcnt(0)
	v_mul_lo_u32 v4, s0, v4
	v_mul_lo_u32 v6, s1, v5
	v_mad_u64_u32 v[1:2], s[0:1], s0, v5, v[1:2]
	s_addc_u32 s19, s19, 0
	s_add_u32 s6, s6, 8
	v_add3_u32 v2, v6, v2, v4
	v_mov_b32_e32 v4, s10
	v_mov_b32_e32 v5, s11
	s_addc_u32 s7, s7, 0
	v_cmp_ge_u64_e32 vcc, s[18:19], v[4:5]
	s_add_u32 s16, s16, 8
	s_addc_u32 s17, s17, 0
	s_cbranch_vccnz .LBB0_9
; %bb.7:                                ;   in Loop: Header=BB0_2 Depth=1
	v_mov_b32_e32 v5, v7
	v_mov_b32_e32 v6, v8
	s_branch .LBB0_2
.LBB0_8:
	v_mov_b32_e32 v8, v6
	v_mov_b32_e32 v7, v5
.LBB0_9:
	s_lshl_b64 s[0:1], s[10:11], 3
	s_add_u32 s0, s14, s0
	s_addc_u32 s1, s15, s1
	s_load_dwordx2 s[6:7], s[0:1], 0x0
	s_load_dwordx2 s[10:11], s[4:5], 0x20
                                        ; implicit-def: $vgpr132
                                        ; implicit-def: $vgpr136
                                        ; implicit-def: $vgpr146
                                        ; implicit-def: $vgpr128
                                        ; implicit-def: $vgpr141
                                        ; implicit-def: $vgpr144
                                        ; implicit-def: $vgpr139
                                        ; implicit-def: $vgpr126
                                        ; implicit-def: $vgpr131
                                        ; implicit-def: $vgpr124
                                        ; implicit-def: $vgpr138
                                        ; implicit-def: $vgpr129
                                        ; implicit-def: $vgpr134
                                        ; implicit-def: $vgpr143
	s_waitcnt lgkmcnt(0)
	v_mad_u64_u32 v[1:2], s[0:1], s6, v7, v[1:2]
	s_mov_b32 s0, 0x2aaaaab
	v_mul_lo_u32 v3, s6, v8
	v_mul_lo_u32 v4, s7, v7
	v_mul_hi_u32 v5, v0, s0
	v_cmp_gt_u64_e32 vcc, s[10:11], v[7:8]
	v_cmp_le_u64_e64 s[0:1], s[10:11], v[7:8]
	v_add3_u32 v2, v4, v2, v3
	v_mul_u32_u24_e32 v3, 0x60, v5
	v_sub_u32_e32 v120, v0, v3
	s_and_saveexec_b64 s[4:5], s[0:1]
	s_xor_b64 s[0:1], exec, s[4:5]
	s_cbranch_execz .LBB0_11
; %bb.10:
	v_mov_b32_e32 v121, 0
	v_add_u32_e32 v132, 0x60, v120
	v_add_u32_e32 v136, 0xc0, v120
	;; [unrolled: 1-line block ×5, first 2 shown]
	v_or_b32_e32 v144, 0x180, v120
	v_add_u32_e32 v139, 0x240, v120
	v_add_u32_e32 v126, 0x2a0, v120
	v_or_b32_e32 v131, 0x300, v120
	v_add_u32_e32 v124, 0x360, v120
	v_add_u32_e32 v138, 0x420, v120
	v_or_b32_e32 v129, 0x480, v120
	v_add_u32_e32 v134, 0x4e0, v120
	v_mov_b32_e32 v133, v121
	v_mov_b32_e32 v137, v121
	;; [unrolled: 1-line block ×6, first 2 shown]
	v_add_u32_e32 v143, 0x540, v120
.LBB0_11:
	s_or_saveexec_b64 s[4:5], s[0:1]
	v_lshlrev_b64 v[122:123], 4, v[1:2]
                                        ; implicit-def: $vgpr2_vgpr3
                                        ; implicit-def: $vgpr30_vgpr31
                                        ; implicit-def: $vgpr6_vgpr7
                                        ; implicit-def: $vgpr26_vgpr27
                                        ; implicit-def: $vgpr14_vgpr15
                                        ; implicit-def: $vgpr34_vgpr35
                                        ; implicit-def: $vgpr10_vgpr11
                                        ; implicit-def: $vgpr22_vgpr23
                                        ; implicit-def: $vgpr18_vgpr19
                                        ; implicit-def: $vgpr38_vgpr39
                                        ; implicit-def: $vgpr42_vgpr43
                                        ; implicit-def: $vgpr102_vgpr103
                                        ; implicit-def: $vgpr46_vgpr47
                                        ; implicit-def: $vgpr90_vgpr91
                                        ; implicit-def: $vgpr66_vgpr67
                                        ; implicit-def: $vgpr98_vgpr99
                                        ; implicit-def: $vgpr70_vgpr71
                                        ; implicit-def: $vgpr94_vgpr95
                                        ; implicit-def: $vgpr58_vgpr59
                                        ; implicit-def: $vgpr106_vgpr107
                                        ; implicit-def: $vgpr50_vgpr51
                                        ; implicit-def: $vgpr86_vgpr87
                                        ; implicit-def: $vgpr54_vgpr55
                                        ; implicit-def: $vgpr82_vgpr83
                                        ; implicit-def: $vgpr74_vgpr75
                                        ; implicit-def: $vgpr114_vgpr115
                                        ; implicit-def: $vgpr62_vgpr63
                                        ; implicit-def: $vgpr110_vgpr111
                                        ; implicit-def: $vgpr78_vgpr79
                                        ; implicit-def: $vgpr118_vgpr119
	s_xor_b64 exec, exec, s[4:5]
	s_cbranch_execz .LBB0_13
; %bb.12:
	v_mad_u64_u32 v[0:1], s[0:1], s2, v120, 0
	v_add_u32_e32 v141, 0x120, v120
	v_mov_b32_e32 v4, s13
	v_mad_u64_u32 v[1:2], s[0:1], s3, v120, v[1:2]
	v_mad_u64_u32 v[2:3], s[0:1], s2, v141, 0
	v_add_co_u32_e64 v20, s[0:1], s12, v122
	v_addc_co_u32_e64 v21, s[0:1], v4, v123, s[0:1]
	v_mad_u64_u32 v[3:4], s[0:1], s3, v141, v[3:4]
	v_add_u32_e32 v139, 0x240, v120
	v_mad_u64_u32 v[4:5], s[0:1], s2, v139, 0
	v_lshlrev_b64 v[0:1], 4, v[0:1]
	v_add_u32_e32 v124, 0x360, v120
	v_add_co_u32_e64 v0, s[0:1], v20, v0
	v_addc_co_u32_e64 v1, s[0:1], v21, v1, s[0:1]
	v_mad_u64_u32 v[5:6], s[0:1], s3, v139, v[5:6]
	v_mad_u64_u32 v[6:7], s[0:1], s2, v124, 0
	v_lshlrev_b64 v[2:3], 4, v[2:3]
	v_or_b32_e32 v129, 0x480, v120
	v_add_co_u32_e64 v2, s[0:1], v20, v2
	v_addc_co_u32_e64 v3, s[0:1], v21, v3, s[0:1]
	v_mad_u64_u32 v[7:8], s[0:1], s3, v124, v[7:8]
	v_mad_u64_u32 v[8:9], s[0:1], s2, v129, 0
	v_lshlrev_b64 v[4:5], 4, v[4:5]
	v_add_u32_e32 v12, 0x5a0, v120
	v_add_co_u32_e64 v4, s[0:1], v20, v4
	v_addc_co_u32_e64 v5, s[0:1], v21, v5, s[0:1]
	v_mad_u64_u32 v[9:10], s[0:1], s3, v129, v[9:10]
	v_mad_u64_u32 v[10:11], s[0:1], s2, v12, 0
	v_lshlrev_b64 v[6:7], 4, v[6:7]
	v_add_u32_e32 v14, 0x6c0, v120
	v_add_co_u32_e64 v6, s[0:1], v20, v6
	v_addc_co_u32_e64 v7, s[0:1], v21, v7, s[0:1]
	v_mad_u64_u32 v[11:12], s[0:1], s3, v12, v[11:12]
	v_mad_u64_u32 v[12:13], s[0:1], s2, v14, 0
	v_lshlrev_b64 v[8:9], 4, v[8:9]
	v_add_u32_e32 v16, 0x7e0, v120
	v_add_co_u32_e64 v8, s[0:1], v20, v8
	v_addc_co_u32_e64 v9, s[0:1], v21, v9, s[0:1]
	v_mad_u64_u32 v[13:14], s[0:1], s3, v14, v[13:14]
	v_mad_u64_u32 v[14:15], s[0:1], s2, v16, 0
	v_lshlrev_b64 v[10:11], 4, v[10:11]
	v_or_b32_e32 v18, 0x900, v120
	v_add_co_u32_e64 v10, s[0:1], v20, v10
	v_addc_co_u32_e64 v11, s[0:1], v21, v11, s[0:1]
	v_mad_u64_u32 v[15:16], s[0:1], s3, v16, v[15:16]
	v_mad_u64_u32 v[16:17], s[0:1], s2, v18, 0
	v_lshlrev_b64 v[12:13], 4, v[12:13]
	v_add_u32_e32 v22, 0xa20, v120
	v_add_co_u32_e64 v12, s[0:1], v20, v12
	v_addc_co_u32_e64 v13, s[0:1], v21, v13, s[0:1]
	v_mad_u64_u32 v[17:18], s[0:1], s3, v18, v[17:18]
	v_mad_u64_u32 v[18:19], s[0:1], s2, v22, 0
	v_lshlrev_b64 v[14:15], 4, v[14:15]
	v_add_u32_e32 v132, 0x60, v120
	v_add_co_u32_e64 v14, s[0:1], v20, v14
	v_addc_co_u32_e64 v15, s[0:1], v21, v15, s[0:1]
	v_mad_u64_u32 v[22:23], s[0:1], s3, v22, v[19:20]
	v_mad_u64_u32 v[23:24], s[0:1], s2, v132, 0
	v_lshlrev_b64 v[16:17], 4, v[16:17]
	v_mov_b32_e32 v19, v22
	v_add_co_u32_e64 v16, s[0:1], v20, v16
	v_mov_b32_e32 v22, v24
	v_addc_co_u32_e64 v17, s[0:1], v21, v17, s[0:1]
	v_mad_u64_u32 v[24:25], s[0:1], s3, v132, v[22:23]
	v_or_b32_e32 v144, 0x180, v120
	v_mad_u64_u32 v[25:26], s[0:1], s2, v144, 0
	v_lshlrev_b64 v[18:19], 4, v[18:19]
	v_lshlrev_b64 v[22:23], 4, v[23:24]
	v_add_co_u32_e64 v18, s[0:1], v20, v18
	v_mov_b32_e32 v24, v26
	v_addc_co_u32_e64 v19, s[0:1], v21, v19, s[0:1]
	v_mad_u64_u32 v[26:27], s[0:1], s3, v144, v[24:25]
	v_add_u32_e32 v126, 0x2a0, v120
	v_mad_u64_u32 v[27:28], s[0:1], s2, v126, 0
	v_add_co_u32_e64 v22, s[0:1], v20, v22
	v_lshlrev_b64 v[24:25], 4, v[25:26]
	v_mov_b32_e32 v26, v28
	v_addc_co_u32_e64 v23, s[0:1], v21, v23, s[0:1]
	v_mad_u64_u32 v[28:29], s[0:1], s3, v126, v[26:27]
	v_add_u32_e32 v128, 0x3c0, v120
	v_mad_u64_u32 v[29:30], s[0:1], s2, v128, 0
	v_add_co_u32_e64 v24, s[0:1], v20, v24
	v_lshlrev_b64 v[26:27], 4, v[27:28]
	;; [unrolled: 7-line block ×3, first 2 shown]
	v_mov_b32_e32 v30, v32
	v_addc_co_u32_e64 v27, s[0:1], v21, v27, s[0:1]
	v_mad_u64_u32 v[32:33], s[0:1], s3, v134, v[30:31]
	v_or_b32_e32 v35, 0x600, v120
	v_mad_u64_u32 v[33:34], s[0:1], s2, v35, 0
	v_add_co_u32_e64 v28, s[0:1], v20, v28
	v_lshlrev_b64 v[30:31], 4, v[31:32]
	v_mov_b32_e32 v32, v34
	v_addc_co_u32_e64 v29, s[0:1], v21, v29, s[0:1]
	v_mad_u64_u32 v[34:35], s[0:1], s3, v35, v[32:33]
	v_add_u32_e32 v37, 0x720, v120
	v_mad_u64_u32 v[35:36], s[0:1], s2, v37, 0
	v_add_co_u32_e64 v30, s[0:1], v20, v30
	v_lshlrev_b64 v[32:33], 4, v[33:34]
	v_mov_b32_e32 v34, v36
	v_addc_co_u32_e64 v31, s[0:1], v21, v31, s[0:1]
	v_mad_u64_u32 v[36:37], s[0:1], s3, v37, v[34:35]
	v_add_u32_e32 v39, 0x840, v120
	;; [unrolled: 7-line block ×3, first 2 shown]
	v_mad_u64_u32 v[39:40], s[0:1], s2, v41, 0
	v_add_co_u32_e64 v34, s[0:1], v20, v34
	v_lshlrev_b64 v[36:37], 4, v[37:38]
	v_mov_b32_e32 v38, v40
	v_addc_co_u32_e64 v35, s[0:1], v21, v35, s[0:1]
	v_mad_u64_u32 v[40:41], s[0:1], s3, v41, v[38:39]
	v_or_b32_e32 v43, 0xa80, v120
	v_mad_u64_u32 v[41:42], s[0:1], s2, v43, 0
	v_add_co_u32_e64 v36, s[0:1], v20, v36
	v_lshlrev_b64 v[38:39], 4, v[39:40]
	v_mov_b32_e32 v40, v42
	v_addc_co_u32_e64 v37, s[0:1], v21, v37, s[0:1]
	v_mad_u64_u32 v[42:43], s[0:1], s3, v43, v[40:41]
	v_add_u32_e32 v136, 0xc0, v120
	v_mad_u64_u32 v[43:44], s[0:1], s2, v136, 0
	v_add_co_u32_e64 v147, s[0:1], v20, v38
	v_mov_b32_e32 v40, v44
	v_addc_co_u32_e64 v148, s[0:1], v21, v39, s[0:1]
	v_lshlrev_b64 v[38:39], 4, v[41:42]
	v_mad_u64_u32 v[40:41], s[0:1], s3, v136, v[40:41]
	v_add_u32_e32 v146, 0x1e0, v120
	v_mad_u64_u32 v[41:42], s[0:1], s2, v146, 0
	v_add_co_u32_e64 v149, s[0:1], v20, v38
	v_mov_b32_e32 v44, v40
	v_mov_b32_e32 v40, v42
	v_addc_co_u32_e64 v150, s[0:1], v21, v39, s[0:1]
	v_lshlrev_b64 v[38:39], 4, v[43:44]
	v_mad_u64_u32 v[42:43], s[0:1], s3, v146, v[40:41]
	v_or_b32_e32 v131, 0x300, v120
	v_mad_u64_u32 v[43:44], s[0:1], s2, v131, 0
	v_add_co_u32_e64 v151, s[0:1], v20, v38
	v_mov_b32_e32 v40, v44
	v_addc_co_u32_e64 v152, s[0:1], v21, v39, s[0:1]
	v_lshlrev_b64 v[38:39], 4, v[41:42]
	v_mad_u64_u32 v[40:41], s[0:1], s3, v131, v[40:41]
	v_add_u32_e32 v138, 0x420, v120
	v_mad_u64_u32 v[41:42], s[0:1], s2, v138, 0
	v_add_co_u32_e64 v153, s[0:1], v20, v38
	v_mov_b32_e32 v44, v40
	v_mov_b32_e32 v40, v42
	v_addc_co_u32_e64 v154, s[0:1], v21, v39, s[0:1]
	v_lshlrev_b64 v[38:39], 4, v[43:44]
	v_mad_u64_u32 v[42:43], s[0:1], s3, v138, v[40:41]
	v_add_u32_e32 v143, 0x540, v120
	v_mad_u64_u32 v[43:44], s[0:1], s2, v143, 0
	v_add_co_u32_e64 v155, s[0:1], v20, v38
	v_mov_b32_e32 v40, v44
	v_addc_co_u32_e64 v156, s[0:1], v21, v39, s[0:1]
	v_lshlrev_b64 v[38:39], 4, v[41:42]
	v_mad_u64_u32 v[40:41], s[0:1], s3, v143, v[40:41]
	v_add_u32_e32 v45, 0x660, v120
	v_mad_u64_u32 v[41:42], s[0:1], s2, v45, 0
	v_add_co_u32_e64 v157, s[0:1], v20, v38
	v_mov_b32_e32 v44, v40
	v_mov_b32_e32 v40, v42
	v_addc_co_u32_e64 v158, s[0:1], v21, v39, s[0:1]
	v_lshlrev_b64 v[38:39], 4, v[43:44]
	v_mad_u64_u32 v[42:43], s[0:1], s3, v45, v[40:41]
	v_or_b32_e32 v45, 0x780, v120
	v_mad_u64_u32 v[43:44], s[0:1], s2, v45, 0
	v_add_co_u32_e64 v159, s[0:1], v20, v38
	v_mov_b32_e32 v40, v44
	v_addc_co_u32_e64 v160, s[0:1], v21, v39, s[0:1]
	v_lshlrev_b64 v[38:39], 4, v[41:42]
	v_mad_u64_u32 v[40:41], s[0:1], s3, v45, v[40:41]
	v_add_u32_e32 v45, 0x8a0, v120
	v_mad_u64_u32 v[41:42], s[0:1], s2, v45, 0
	v_add_co_u32_e64 v161, s[0:1], v20, v38
	v_mov_b32_e32 v44, v40
	v_mov_b32_e32 v40, v42
	v_addc_co_u32_e64 v162, s[0:1], v21, v39, s[0:1]
	v_lshlrev_b64 v[38:39], 4, v[43:44]
	v_mad_u64_u32 v[42:43], s[0:1], s3, v45, v[40:41]
	v_add_u32_e32 v45, 0x9c0, v120
	v_mad_u64_u32 v[43:44], s[0:1], s2, v45, 0
	v_add_co_u32_e64 v163, s[0:1], v20, v38
	v_mov_b32_e32 v40, v44
	v_addc_co_u32_e64 v164, s[0:1], v21, v39, s[0:1]
	v_lshlrev_b64 v[38:39], 4, v[41:42]
	v_mad_u64_u32 v[40:41], s[0:1], s3, v45, v[40:41]
	v_add_u32_e32 v45, 0xae0, v120
	v_mad_u64_u32 v[41:42], s[0:1], s2, v45, 0
	v_add_co_u32_e64 v165, s[0:1], v20, v38
	v_mov_b32_e32 v44, v40
	v_mov_b32_e32 v40, v42
	v_addc_co_u32_e64 v166, s[0:1], v21, v39, s[0:1]
	v_lshlrev_b64 v[38:39], 4, v[43:44]
	v_mad_u64_u32 v[42:43], s[0:1], s3, v45, v[40:41]
	v_add_co_u32_e64 v167, s[0:1], v20, v38
	v_addc_co_u32_e64 v168, s[0:1], v21, v39, s[0:1]
	v_lshlrev_b64 v[38:39], 4, v[41:42]
	v_mov_b32_e32 v121, 0
	v_add_co_u32_e64 v169, s[0:1], v20, v38
	v_addc_co_u32_e64 v170, s[0:1], v21, v39, s[0:1]
	global_load_dwordx4 v[116:119], v[0:1], off
	global_load_dwordx4 v[76:79], v[2:3], off
	global_load_dwordx4 v[108:111], v[4:5], off
	global_load_dwordx4 v[60:63], v[6:7], off
	global_load_dwordx4 v[112:115], v[8:9], off
	global_load_dwordx4 v[72:75], v[10:11], off
	global_load_dwordx4 v[80:83], v[12:13], off
	global_load_dwordx4 v[52:55], v[14:15], off
	global_load_dwordx4 v[84:87], v[16:17], off
	global_load_dwordx4 v[48:51], v[18:19], off
	global_load_dwordx4 v[104:107], v[22:23], off
	global_load_dwordx4 v[56:59], v[24:25], off
                                        ; kill: killed $vgpr2 killed $vgpr3
                                        ; kill: killed $vgpr16 killed $vgpr17
                                        ; kill: killed $vgpr4 killed $vgpr5
                                        ; kill: killed $vgpr18 killed $vgpr19
                                        ; kill: killed $vgpr22 killed $vgpr23
                                        ; kill: killed $vgpr24 killed $vgpr25
                                        ; kill: killed $vgpr8 killed $vgpr9
                                        ; kill: killed $vgpr10 killed $vgpr11
                                        ; kill: killed $vgpr12 killed $vgpr13
                                        ; kill: killed $vgpr6 killed $vgpr7
                                        ; kill: killed $vgpr0 killed $vgpr1
                                        ; kill: killed $vgpr14 killed $vgpr15
	global_load_dwordx4 v[92:95], v[26:27], off
	global_load_dwordx4 v[68:71], v[28:29], off
	;; [unrolled: 1-line block ×6, first 2 shown]
                                        ; kill: killed $vgpr26 killed $vgpr27
                                        ; kill: killed $vgpr30 killed $vgpr31
                                        ; kill: killed $vgpr32 killed $vgpr33
                                        ; kill: killed $vgpr34 killed $vgpr35
                                        ; kill: killed $vgpr28 killed $vgpr29
                                        ; kill: killed $vgpr36 killed $vgpr37
	global_load_dwordx4 v[100:103], v[147:148], off
	global_load_dwordx4 v[40:43], v[149:150], off
	s_nop 0
	global_load_dwordx4 v[36:39], v[151:152], off
                                        ; kill: killed $vgpr147 killed $vgpr148
                                        ; kill: killed $vgpr149 killed $vgpr150
                                        ; kill: killed $vgpr151 killed $vgpr152
	global_load_dwordx4 v[16:19], v[153:154], off
	global_load_dwordx4 v[20:23], v[155:156], off
                                        ; kill: killed $vgpr155 killed $vgpr156
                                        ; kill: killed $vgpr153 killed $vgpr154
	global_load_dwordx4 v[8:11], v[157:158], off
	global_load_dwordx4 v[32:35], v[159:160], off
	;; [unrolled: 1-line block ×7, first 2 shown]
	v_mov_b32_e32 v142, v121
	v_mov_b32_e32 v140, v121
	;; [unrolled: 1-line block ×6, first 2 shown]
.LBB0_13:
	s_or_b64 exec, exec, s[4:5]
	s_waitcnt vmcnt(23)
	v_add_f64 v[148:149], v[80:81], v[112:113]
	v_add_f64 v[150:151], v[108:109], v[116:117]
	s_waitcnt vmcnt(21)
	v_add_f64 v[152:153], v[110:111], -v[86:87]
	v_add_f64 v[160:161], v[84:85], v[108:109]
	s_mov_b32 s0, 0x134454ff
	s_mov_b32 s1, 0x3fee6f0e
	;; [unrolled: 1-line block ×4, first 2 shown]
	v_fma_f64 v[148:149], v[148:149], -0.5, v[116:117]
	v_add_f64 v[150:151], v[112:113], v[150:151]
	v_add_f64 v[154:155], v[114:115], -v[82:83]
	v_add_f64 v[156:157], v[108:109], -v[112:113]
	;; [unrolled: 1-line block ×3, first 2 shown]
	v_fma_f64 v[116:117], v[160:161], -0.5, v[116:117]
	s_mov_b32 s4, 0x4755a5e
	s_mov_b32 s5, 0x3fe2cf23
	v_fma_f64 v[162:163], v[152:153], s[0:1], v[148:149]
	v_add_f64 v[150:151], v[80:81], v[150:151]
	v_fma_f64 v[148:149], v[152:153], s[10:11], v[148:149]
	s_mov_b32 s15, 0xbfe2cf23
	s_mov_b32 s14, s4
	v_add_f64 v[164:165], v[112:113], -v[108:109]
	v_add_f64 v[160:161], v[80:81], -v[84:85]
	v_add_f64 v[166:167], v[82:83], v[114:115]
	v_add_f64 v[156:157], v[158:159], v[156:157]
	v_fma_f64 v[158:159], v[154:155], s[4:5], v[162:163]
	v_fma_f64 v[162:163], v[154:155], s[10:11], v[116:117]
	v_add_f64 v[168:169], v[110:111], v[118:119]
	v_add_f64 v[108:109], v[108:109], -v[84:85]
	v_add_f64 v[150:151], v[84:85], v[150:151]
	v_fma_f64 v[84:85], v[154:155], s[14:15], v[148:149]
	v_fma_f64 v[116:117], v[154:155], s[0:1], v[116:117]
	s_mov_b32 s6, 0x372fe950
	s_mov_b32 s7, 0x3fd3c6ef
	v_fma_f64 v[166:167], v[166:167], -0.5, v[118:119]
	v_fma_f64 v[158:159], v[156:157], s[6:7], v[158:159]
	v_fma_f64 v[148:149], v[152:153], s[4:5], v[162:163]
	v_add_f64 v[160:161], v[160:161], v[164:165]
	v_add_f64 v[154:155], v[114:115], v[168:169]
	v_add_f64 v[80:81], v[112:113], -v[80:81]
	v_add_f64 v[112:113], v[110:111], -v[114:115]
	;; [unrolled: 1-line block ×3, first 2 shown]
	v_fma_f64 v[156:157], v[156:157], s[6:7], v[84:85]
	v_add_f64 v[84:85], v[86:87], v[110:111]
	v_fma_f64 v[116:117], v[152:153], s[14:15], v[116:117]
	v_fma_f64 v[162:163], v[108:109], s[10:11], v[166:167]
	v_add_f64 v[152:153], v[82:83], v[154:155]
	v_fma_f64 v[148:149], v[160:161], s[6:7], v[148:149]
	v_add_f64 v[154:155], v[52:53], v[72:73]
	v_add_f64 v[112:113], v[164:165], v[112:113]
	v_fma_f64 v[164:165], v[108:109], s[0:1], v[166:167]
	v_fma_f64 v[84:85], v[84:85], -0.5, v[118:119]
	v_fma_f64 v[160:161], v[160:161], s[6:7], v[116:117]
	v_add_f64 v[116:117], v[60:61], v[76:77]
	v_fma_f64 v[162:163], v[80:81], s[14:15], v[162:163]
	v_add_f64 v[152:153], v[86:87], v[152:153]
	v_fma_f64 v[118:119], v[154:155], -0.5, v[76:77]
	s_waitcnt vmcnt(20)
	v_add_f64 v[154:155], v[62:63], -v[50:51]
	v_fma_f64 v[164:165], v[80:81], s[4:5], v[164:165]
	v_fma_f64 v[166:167], v[80:81], s[0:1], v[84:85]
	;; [unrolled: 1-line block ×3, first 2 shown]
	v_add_f64 v[84:85], v[72:73], v[116:117]
	v_add_f64 v[110:111], v[114:115], -v[110:111]
	v_add_f64 v[82:83], v[82:83], -v[86:87]
	;; [unrolled: 1-line block ×3, first 2 shown]
	v_fma_f64 v[86:87], v[154:155], s[0:1], v[118:119]
	v_add_f64 v[116:117], v[60:61], -v[72:73]
	v_add_f64 v[168:169], v[48:49], -v[52:53]
	v_fma_f64 v[118:119], v[154:155], s[10:11], v[118:119]
	v_add_f64 v[170:171], v[48:49], v[60:61]
	v_add_f64 v[84:85], v[52:53], v[84:85]
	v_fma_f64 v[162:163], v[112:113], s[6:7], v[162:163]
	v_fma_f64 v[166:167], v[108:109], s[14:15], v[166:167]
	v_add_f64 v[82:83], v[82:83], v[110:111]
	v_fma_f64 v[80:81], v[108:109], s[4:5], v[80:81]
	v_fma_f64 v[86:87], v[114:115], s[4:5], v[86:87]
	v_add_f64 v[108:109], v[168:169], v[116:117]
	v_fma_f64 v[110:111], v[114:115], s[14:15], v[118:119]
	v_fma_f64 v[76:77], v[170:171], -0.5, v[76:77]
	v_fma_f64 v[164:165], v[112:113], s[6:7], v[164:165]
	v_add_f64 v[112:113], v[54:55], v[74:75]
	v_add_f64 v[116:117], v[48:49], v[84:85]
	;; [unrolled: 1-line block ×3, first 2 shown]
	v_fma_f64 v[166:167], v[82:83], s[6:7], v[166:167]
	v_fma_f64 v[168:169], v[82:83], s[6:7], v[80:81]
	;; [unrolled: 1-line block ×5, first 2 shown]
	v_fma_f64 v[108:109], v[112:113], -0.5, v[78:79]
	v_add_f64 v[110:111], v[60:61], -v[48:49]
	v_add_f64 v[60:61], v[72:73], -v[60:61]
	;; [unrolled: 1-line block ×3, first 2 shown]
	v_fma_f64 v[76:77], v[114:115], s[0:1], v[76:77]
	v_add_f64 v[112:113], v[62:63], v[78:79]
	v_add_f64 v[52:53], v[72:73], -v[52:53]
	v_fma_f64 v[72:73], v[84:85], -0.5, v[78:79]
	v_add_f64 v[84:85], v[62:63], -v[74:75]
	v_add_f64 v[62:63], v[74:75], -v[62:63]
	v_fma_f64 v[78:79], v[154:155], s[4:5], v[80:81]
	v_add_f64 v[48:49], v[48:49], v[60:61]
	v_fma_f64 v[60:61], v[154:155], s[14:15], v[76:77]
	v_add_f64 v[76:77], v[74:75], v[112:113]
	v_add_f64 v[74:75], v[54:55], -v[50:51]
	v_fma_f64 v[112:113], v[52:53], s[0:1], v[72:73]
	v_fma_f64 v[72:73], v[52:53], s[10:11], v[72:73]
	;; [unrolled: 1-line block ×3, first 2 shown]
	v_add_f64 v[114:115], v[50:51], -v[54:55]
	v_fma_f64 v[108:109], v[110:111], s[0:1], v[108:109]
	s_mov_b32 s16, 0x9b97f4a8
	v_add_f64 v[54:55], v[54:55], v[76:77]
	v_add_f64 v[62:63], v[74:75], v[62:63]
	s_mov_b32 s17, 0x3fe9e377
	v_fma_f64 v[72:73], v[110:111], s[4:5], v[72:73]
	v_fma_f64 v[80:81], v[52:53], s[14:15], v[80:81]
	v_add_f64 v[84:85], v[114:115], v[84:85]
	v_fma_f64 v[78:79], v[48:49], s[6:7], v[78:79]
	v_fma_f64 v[48:49], v[48:49], s[6:7], v[60:61]
	v_add_f64 v[50:51], v[50:51], v[54:55]
	v_fma_f64 v[60:61], v[110:111], s[14:15], v[112:113]
	v_fma_f64 v[52:53], v[52:53], s[4:5], v[108:109]
	;; [unrolled: 1-line block ×3, first 2 shown]
	v_mul_f64 v[76:77], v[82:83], s[16:17]
	v_fma_f64 v[74:75], v[84:85], s[6:7], v[80:81]
	v_mul_f64 v[108:109], v[78:79], s[6:7]
	v_add_f64 v[80:81], v[116:117], v[150:151]
	v_mul_f64 v[78:79], v[78:79], s[10:11]
	v_fma_f64 v[60:61], v[62:63], s[6:7], v[60:61]
	v_fma_f64 v[52:53], v[84:85], s[6:7], v[52:53]
	v_mul_f64 v[110:111], v[54:55], s[6:7]
	v_mul_f64 v[62:63], v[48:49], s[6:7]
	v_fma_f64 v[72:73], v[74:75], s[4:5], v[76:77]
	v_mul_f64 v[76:77], v[86:87], s[16:17]
	s_waitcnt vmcnt(11)
	v_add_f64 v[178:179], v[94:95], -v[102:103]
	v_add_f64 v[174:175], v[92:93], v[104:105]
	v_fma_f64 v[112:113], v[60:61], s[0:1], v[108:109]
	v_mul_f64 v[108:109], v[82:83], s[14:15]
	v_fma_f64 v[170:171], v[48:49], s[10:11], -v[110:111]
	v_add_f64 v[110:111], v[88:89], v[96:97]
	v_mul_f64 v[114:115], v[52:53], s[16:17]
	v_fma_f64 v[154:155], v[54:55], s[0:1], -v[62:63]
	v_fma_f64 v[76:77], v[52:53], s[4:5], -v[76:77]
	v_fma_f64 v[78:79], v[60:61], s[6:7], v[78:79]
	v_add_f64 v[84:85], v[148:149], v[112:113]
	v_fma_f64 v[74:75], v[74:75], s[16:17], v[108:109]
	v_add_f64 v[118:119], v[148:149], -v[112:113]
	v_fma_f64 v[176:177], v[110:111], -0.5, v[104:105]
	v_add_f64 v[110:111], v[150:151], -v[116:117]
	v_add_f64 v[150:151], v[100:101], v[92:93]
	v_fma_f64 v[172:173], v[86:87], s[14:15], -v[114:115]
	v_add_f64 v[86:87], v[160:161], v[154:155]
	v_add_f64 v[108:109], v[156:157], v[76:77]
	v_add_f64 v[112:113], v[160:161], -v[154:155]
	v_add_f64 v[114:115], v[156:157], -v[76:77]
	v_fma_f64 v[154:155], v[178:179], s[0:1], v[176:177]
	v_add_f64 v[156:157], v[98:99], -v[90:91]
	v_fma_f64 v[104:105], v[150:151], -0.5, v[104:105]
	v_add_f64 v[82:83], v[158:159], v[72:73]
	v_add_f64 v[60:61], v[50:51], v[152:153]
	;; [unrolled: 1-line block ×6, first 2 shown]
	v_add_f64 v[116:117], v[158:159], -v[72:73]
	v_add_f64 v[50:51], v[152:153], -v[50:51]
	;; [unrolled: 1-line block ×6, first 2 shown]
	v_fma_f64 v[150:151], v[156:157], s[4:5], v[154:155]
	v_add_f64 v[152:153], v[92:93], -v[96:97]
	v_add_f64 v[154:155], v[94:95], v[106:107]
	v_add_f64 v[158:159], v[90:91], v[98:99]
	v_add_f64 v[160:161], v[100:101], -v[88:89]
	v_fma_f64 v[162:163], v[178:179], s[10:11], v[176:177]
	v_fma_f64 v[164:165], v[156:157], s[10:11], v[104:105]
	v_add_f64 v[166:167], v[96:97], -v[92:93]
	v_add_f64 v[168:169], v[88:89], -v[100:101]
	v_fma_f64 v[104:105], v[156:157], s[0:1], v[104:105]
	v_add_f64 v[148:149], v[96:97], v[174:175]
	v_add_f64 v[154:155], v[98:99], v[154:155]
	v_fma_f64 v[158:159], v[158:159], -0.5, v[106:107]
	v_add_f64 v[92:93], v[92:93], -v[100:101]
	v_add_f64 v[152:153], v[160:161], v[152:153]
	v_fma_f64 v[156:157], v[156:157], s[14:15], v[162:163]
	v_fma_f64 v[160:161], v[178:179], s[4:5], v[164:165]
	v_add_f64 v[162:163], v[168:169], v[166:167]
	v_fma_f64 v[104:105], v[178:179], s[14:15], v[104:105]
	v_add_f64 v[164:165], v[102:103], v[94:95]
	v_add_f64 v[148:149], v[88:89], v[148:149]
	;; [unrolled: 1-line block ×3, first 2 shown]
	v_fma_f64 v[166:167], v[92:93], s[10:11], v[158:159]
	v_add_f64 v[88:89], v[96:97], -v[88:89]
	v_fma_f64 v[150:151], v[152:153], s[6:7], v[150:151]
	v_fma_f64 v[152:153], v[152:153], s[6:7], v[156:157]
	;; [unrolled: 1-line block ×3, first 2 shown]
	v_fma_f64 v[96:97], v[164:165], -0.5, v[106:107]
	v_fma_f64 v[105:106], v[162:163], s[6:7], v[104:105]
	v_add_f64 v[160:161], v[94:95], -v[98:99]
	v_add_f64 v[162:163], v[44:45], v[64:65]
	v_add_f64 v[164:165], v[102:103], -v[90:91]
	v_add_f64 v[94:95], v[98:99], -v[94:95]
	;; [unrolled: 1-line block ×3, first 2 shown]
	v_add_f64 v[98:99], v[68:69], v[56:57]
	v_add_f64 v[148:149], v[100:101], v[148:149]
	;; [unrolled: 1-line block ×3, first 2 shown]
	v_fma_f64 v[100:101], v[88:89], s[14:15], v[166:167]
	v_fma_f64 v[158:159], v[92:93], s[0:1], v[158:159]
	;; [unrolled: 1-line block ×4, first 2 shown]
	v_fma_f64 v[102:103], v[162:163], -0.5, v[56:57]
	s_waitcnt vmcnt(10)
	v_add_f64 v[162:163], v[70:71], -v[42:43]
	v_add_f64 v[90:91], v[90:91], v[94:95]
	v_add_f64 v[94:95], v[64:65], v[98:99]
	;; [unrolled: 1-line block ×3, first 2 shown]
	v_fma_f64 v[88:89], v[88:89], s[4:5], v[158:159]
	v_fma_f64 v[158:159], v[92:93], s[14:15], v[166:167]
	;; [unrolled: 1-line block ×3, first 2 shown]
	v_add_f64 v[96:97], v[40:41], v[68:69]
	v_fma_f64 v[98:99], v[162:163], s[0:1], v[102:103]
	v_add_f64 v[164:165], v[66:67], -v[46:47]
	v_add_f64 v[94:95], v[44:45], v[94:95]
	v_add_f64 v[166:167], v[68:69], -v[64:65]
	v_add_f64 v[168:169], v[40:41], -v[44:45]
	v_fma_f64 v[170:171], v[160:161], s[6:7], v[100:101]
	v_fma_f64 v[88:89], v[160:161], s[6:7], v[88:89]
	v_fma_f64 v[56:57], v[96:97], -0.5, v[56:57]
	v_fma_f64 v[158:159], v[90:91], s[6:7], v[158:159]
	v_fma_f64 v[90:91], v[90:91], s[6:7], v[92:93]
	;; [unrolled: 1-line block ×3, first 2 shown]
	v_add_f64 v[98:99], v[46:47], v[66:67]
	v_add_f64 v[160:161], v[40:41], v[94:95]
	v_fma_f64 v[94:95], v[162:163], s[10:11], v[102:103]
	v_add_f64 v[102:103], v[42:43], v[70:71]
	v_add_f64 v[96:97], v[168:169], v[166:167]
	v_fma_f64 v[100:101], v[164:165], s[10:11], v[56:57]
	v_add_f64 v[166:167], v[64:65], -v[68:69]
	v_add_f64 v[168:169], v[44:45], -v[40:41]
	v_fma_f64 v[98:99], v[98:99], -0.5, v[58:59]
	v_add_f64 v[40:41], v[68:69], -v[40:41]
	v_add_f64 v[44:45], v[64:65], -v[44:45]
	v_fma_f64 v[64:65], v[102:103], -0.5, v[58:59]
	v_add_f64 v[58:59], v[70:71], v[58:59]
	v_fma_f64 v[68:69], v[164:165], s[14:15], v[94:95]
	v_fma_f64 v[94:95], v[162:163], s[4:5], v[100:101]
	v_add_f64 v[100:101], v[168:169], v[166:167]
	v_fma_f64 v[56:57], v[164:165], s[0:1], v[56:57]
	v_fma_f64 v[102:103], v[40:41], s[10:11], v[98:99]
	v_add_f64 v[164:165], v[70:71], -v[66:67]
	v_add_f64 v[166:167], v[42:43], -v[46:47]
	v_fma_f64 v[168:169], v[44:45], s[0:1], v[64:65]
	v_add_f64 v[70:71], v[66:67], -v[70:71]
	v_add_f64 v[172:173], v[46:47], -v[42:43]
	v_add_f64 v[58:59], v[66:67], v[58:59]
	v_fma_f64 v[98:99], v[40:41], s[0:1], v[98:99]
	v_fma_f64 v[64:65], v[44:45], s[10:11], v[64:65]
	;; [unrolled: 1-line block ×5, first 2 shown]
	v_add_f64 v[102:103], v[166:167], v[164:165]
	v_fma_f64 v[162:163], v[40:41], s[14:15], v[168:169]
	v_add_f64 v[70:71], v[172:173], v[70:71]
	v_fma_f64 v[68:69], v[96:97], s[6:7], v[68:69]
	v_fma_f64 v[94:95], v[100:101], s[6:7], v[94:95]
	v_add_f64 v[46:47], v[46:47], v[58:59]
	v_fma_f64 v[44:45], v[44:45], s[4:5], v[98:99]
	v_fma_f64 v[40:41], v[40:41], s[4:5], v[64:65]
	;; [unrolled: 1-line block ×5, first 2 shown]
	v_mul_f64 v[66:67], v[92:93], s[16:17]
	v_mul_f64 v[96:97], v[94:95], s[6:7]
	v_add_f64 v[162:163], v[42:43], v[46:47]
	v_fma_f64 v[42:43], v[102:103], s[6:7], v[44:45]
	v_fma_f64 v[44:45], v[70:71], s[6:7], v[40:41]
	v_mul_f64 v[70:71], v[68:69], s[16:17]
	v_mul_f64 v[92:93], v[92:93], s[14:15]
	;; [unrolled: 1-line block ×3, first 2 shown]
	v_add_f64 v[40:41], v[160:161], v[148:149]
	v_mul_f64 v[46:47], v[56:57], s[6:7]
	v_fma_f64 v[66:67], v[58:59], s[4:5], v[66:67]
	v_fma_f64 v[164:165], v[64:65], s[0:1], v[96:97]
	v_mul_f64 v[96:97], v[44:45], s[6:7]
	v_fma_f64 v[70:71], v[42:43], s[4:5], -v[70:71]
	v_fma_f64 v[92:93], v[58:59], s[16:17], v[92:93]
	v_fma_f64 v[168:169], v[64:65], s[6:7], v[94:95]
	s_waitcnt vmcnt(3)
	v_add_f64 v[64:65], v[24:25], v[32:33]
	v_add_f64 v[58:59], v[148:149], -v[160:161]
	v_add_f64 v[148:149], v[20:21], v[36:37]
	v_mul_f64 v[98:99], v[42:43], s[16:17]
	v_fma_f64 v[166:167], v[44:45], s[0:1], -v[46:47]
	v_fma_f64 v[172:173], v[56:57], s[10:11], -v[96:97]
	v_add_f64 v[56:57], v[152:153], v[70:71]
	s_waitcnt vmcnt(1)
	v_add_f64 v[176:177], v[22:23], -v[30:31]
	v_fma_f64 v[160:161], v[64:65], -0.5, v[36:37]
	v_add_f64 v[70:71], v[152:153], -v[70:71]
	v_add_f64 v[152:153], v[32:33], v[148:149]
	v_add_f64 v[42:43], v[150:151], v[66:67]
	v_add_f64 v[44:45], v[156:157], v[164:165]
	v_fma_f64 v[174:175], v[68:69], s[14:15], -v[98:99]
	v_add_f64 v[46:47], v[105:106], v[166:167]
	v_add_f64 v[95:96], v[162:163], v[154:155]
	;; [unrolled: 1-line block ×4, first 2 shown]
	v_add_f64 v[64:65], v[150:151], -v[66:67]
	v_add_f64 v[66:67], v[156:157], -v[164:165]
	;; [unrolled: 1-line block ×4, first 2 shown]
	v_add_f64 v[154:155], v[28:29], v[20:21]
	v_fma_f64 v[156:157], v[176:177], s[0:1], v[160:161]
	v_add_f64 v[162:163], v[34:35], -v[26:27]
	v_add_f64 v[164:165], v[20:21], -v[32:33]
	;; [unrolled: 1-line block ×4, first 2 shown]
	v_add_f64 v[92:93], v[24:25], v[152:153]
	v_add_f64 v[152:153], v[90:91], -v[172:173]
	v_add_f64 v[90:91], v[26:27], v[34:35]
	v_add_f64 v[99:100], v[158:159], v[168:169]
	;; [unrolled: 1-line block ×3, first 2 shown]
	v_add_f64 v[150:151], v[158:159], -v[168:169]
	v_fma_f64 v[36:37], v[154:155], -0.5, v[36:37]
	v_fma_f64 v[156:157], v[162:163], s[4:5], v[156:157]
	v_add_f64 v[158:159], v[166:167], v[164:165]
	v_fma_f64 v[160:161], v[176:177], s[10:11], v[160:161]
	v_add_f64 v[154:155], v[88:89], -v[174:175]
	v_add_f64 v[88:89], v[28:29], v[92:93]
	v_add_f64 v[164:165], v[22:23], v[38:39]
	v_fma_f64 v[90:91], v[90:91], -0.5, v[38:39]
	v_add_f64 v[166:167], v[20:21], -v[28:29]
	v_add_f64 v[20:21], v[32:33], -v[20:21]
	;; [unrolled: 1-line block ×3, first 2 shown]
	v_fma_f64 v[92:93], v[162:163], s[10:11], v[36:37]
	v_fma_f64 v[168:169], v[158:159], s[6:7], v[156:157]
	;; [unrolled: 1-line block ×4, first 2 shown]
	v_add_f64 v[160:161], v[34:35], v[164:165]
	v_fma_f64 v[162:163], v[166:167], s[10:11], v[90:91]
	v_add_f64 v[24:25], v[32:33], -v[24:25]
	v_add_f64 v[32:33], v[22:23], -v[34:35]
	;; [unrolled: 1-line block ×3, first 2 shown]
	v_add_f64 v[20:21], v[28:29], v[20:21]
	v_add_f64 v[28:29], v[30:31], v[22:23]
	v_fma_f64 v[92:93], v[176:177], s[4:5], v[92:93]
	v_fma_f64 v[36:37], v[176:177], s[14:15], v[36:37]
	v_add_f64 v[160:161], v[26:27], v[160:161]
	v_fma_f64 v[170:171], v[158:159], s[6:7], v[156:157]
	v_add_f64 v[156:157], v[4:5], v[12:13]
	;; [unrolled: 2-line block ×3, first 2 shown]
	v_fma_f64 v[28:29], v[28:29], -0.5, v[38:39]
	v_add_f64 v[38:39], v[8:9], v[16:17]
	v_fma_f64 v[92:93], v[20:21], s[6:7], v[92:93]
	v_fma_f64 v[20:21], v[20:21], s[6:7], v[36:37]
	v_add_f64 v[36:37], v[30:31], v[160:161]
	v_fma_f64 v[156:157], v[156:157], -0.5, v[16:17]
	s_waitcnt vmcnt(0)
	v_add_f64 v[160:161], v[10:11], -v[2:3]
	v_fma_f64 v[172:173], v[32:33], s[6:7], v[158:159]
	v_fma_f64 v[90:91], v[166:167], s[0:1], v[90:91]
	;; [unrolled: 1-line block ×3, first 2 shown]
	v_add_f64 v[22:23], v[34:35], -v[22:23]
	v_add_f64 v[26:27], v[26:27], -v[30:31]
	v_fma_f64 v[28:29], v[24:25], s[10:11], v[28:29]
	v_add_f64 v[30:31], v[12:13], v[38:39]
	v_fma_f64 v[34:35], v[160:161], s[0:1], v[156:157]
	v_add_f64 v[38:39], v[14:15], -v[6:7]
	v_add_f64 v[162:163], v[8:9], -v[12:13]
	;; [unrolled: 1-line block ×3, first 2 shown]
	v_fma_f64 v[24:25], v[24:25], s[4:5], v[90:91]
	v_add_f64 v[90:91], v[0:1], v[8:9]
	v_fma_f64 v[158:159], v[166:167], s[14:15], v[158:159]
	v_add_f64 v[22:23], v[26:27], v[22:23]
	;; [unrolled: 2-line block ×4, first 2 shown]
	v_fma_f64 v[156:157], v[160:161], s[10:11], v[156:157]
	v_fma_f64 v[16:17], v[90:91], -0.5, v[16:17]
	v_fma_f64 v[24:25], v[32:33], s[6:7], v[24:25]
	v_fma_f64 v[32:33], v[22:23], s[6:7], v[158:159]
	v_fma_f64 v[22:23], v[22:23], s[6:7], v[26:27]
	v_add_f64 v[26:27], v[0:1], v[28:29]
	v_add_f64 v[28:29], v[6:7], v[14:15]
	;; [unrolled: 1-line block ×3, first 2 shown]
	v_fma_f64 v[90:91], v[38:39], s[14:15], v[156:157]
	v_fma_f64 v[156:157], v[38:39], s[10:11], v[16:17]
	v_add_f64 v[158:159], v[12:13], -v[8:9]
	v_add_f64 v[164:165], v[4:5], -v[0:1]
	v_add_f64 v[166:167], v[10:11], v[18:19]
	v_add_f64 v[0:1], v[8:9], -v[0:1]
	v_fma_f64 v[28:29], v[28:29], -0.5, v[18:19]
	v_add_f64 v[4:5], v[12:13], -v[4:5]
	v_fma_f64 v[12:13], v[162:163], -0.5, v[18:19]
	v_fma_f64 v[16:17], v[38:39], s[0:1], v[16:17]
	v_fma_f64 v[30:31], v[34:35], s[6:7], v[30:31]
	;; [unrolled: 1-line block ×4, first 2 shown]
	v_add_f64 v[18:19], v[164:165], v[158:159]
	v_add_f64 v[38:39], v[14:15], v[166:167]
	v_fma_f64 v[90:91], v[0:1], s[10:11], v[28:29]
	v_add_f64 v[156:157], v[10:11], -v[14:15]
	v_add_f64 v[158:159], v[2:3], -v[6:7]
	v_fma_f64 v[28:29], v[0:1], s[0:1], v[28:29]
	v_fma_f64 v[162:163], v[4:5], s[0:1], v[12:13]
	v_add_f64 v[10:11], v[14:15], -v[10:11]
	v_add_f64 v[14:15], v[6:7], -v[2:3]
	v_fma_f64 v[12:13], v[4:5], s[10:11], v[12:13]
	v_fma_f64 v[16:17], v[160:161], s[14:15], v[16:17]
	v_add_f64 v[6:7], v[6:7], v[38:39]
	v_fma_f64 v[38:39], v[4:5], s[14:15], v[90:91]
	v_add_f64 v[90:91], v[158:159], v[156:157]
	v_fma_f64 v[4:5], v[4:5], s[4:5], v[28:29]
	v_fma_f64 v[28:29], v[0:1], s[14:15], v[162:163]
	v_add_f64 v[10:11], v[14:15], v[10:11]
	v_fma_f64 v[0:1], v[0:1], s[4:5], v[12:13]
	v_fma_f64 v[12:13], v[18:19], s[6:7], v[34:35]
	;; [unrolled: 1-line block ×3, first 2 shown]
	v_add_f64 v[34:35], v[2:3], v[6:7]
	v_fma_f64 v[6:7], v[90:91], s[6:7], v[38:39]
	v_mul_f64 v[2:3], v[30:31], s[16:17]
	v_fma_f64 v[4:5], v[90:91], s[6:7], v[4:5]
	v_fma_f64 v[16:17], v[10:11], s[6:7], v[28:29]
	;; [unrolled: 1-line block ×3, first 2 shown]
	v_mul_f64 v[18:19], v[12:13], s[6:7]
	v_mul_f64 v[28:29], v[14:15], s[6:7]
	;; [unrolled: 1-line block ×4, first 2 shown]
	v_fma_f64 v[90:91], v[6:7], s[4:5], v[2:3]
	v_mul_f64 v[12:13], v[12:13], s[10:11]
	v_mul_f64 v[158:159], v[4:5], s[16:17]
	;; [unrolled: 1-line block ×3, first 2 shown]
	v_fma_f64 v[18:19], v[16:17], s[0:1], v[18:19]
	v_fma_f64 v[28:29], v[10:11], s[0:1], -v[28:29]
	v_fma_f64 v[38:39], v[4:5], s[4:5], -v[38:39]
	v_add_f64 v[0:1], v[26:27], v[88:89]
	v_add_f64 v[2:3], v[168:169], v[90:91]
	v_fma_f64 v[30:31], v[6:7], s[16:17], v[30:31]
	v_fma_f64 v[174:175], v[16:17], s[6:7], v[12:13]
	v_fma_f64 v[176:177], v[14:15], s[10:11], -v[156:157]
	v_fma_f64 v[178:179], v[8:9], s[14:15], -v[158:159]
	v_add_f64 v[4:5], v[92:93], v[18:19]
	v_add_f64 v[6:7], v[20:21], v[28:29]
	;; [unrolled: 1-line block ×3, first 2 shown]
	v_add_f64 v[10:11], v[88:89], -v[26:27]
	v_add_f64 v[12:13], v[168:169], -v[90:91]
	;; [unrolled: 1-line block ×4, first 2 shown]
	v_mul_u32_u24_e32 v20, 10, v120
	v_add_f64 v[18:19], v[170:171], -v[38:39]
	v_lshl_add_u32 v125, v20, 3, 0
	v_mul_i32_i24_e32 v20, 10, v132
	ds_write_b128 v125, v[80:83]
	ds_write_b128 v125, v[84:87] offset:16
	ds_write_b128 v125, v[108:111] offset:32
	;; [unrolled: 1-line block ×4, first 2 shown]
	v_lshl_add_u32 v82, v20, 3, 0
	v_mul_i32_i24_e32 v20, 10, v136
	s_movk_i32 s0, 0xffb8
	v_lshl_add_u32 v83, v20, 3, 0
	v_mad_i32_i24 v89, v120, s0, v125
	ds_write_b128 v82, v[40:43]
	ds_write_b128 v82, v[44:47] offset:16
	ds_write_b128 v82, v[56:59] offset:32
	;; [unrolled: 1-line block ×4, first 2 shown]
	v_lshl_add_u32 v90, v146, 3, 0
	v_add_u32_e32 v69, 0x2800, v89
	v_add_u32_e32 v86, 0x3800, v89
	;; [unrolled: 1-line block ×3, first 2 shown]
	v_mad_i32_i24 v93, v132, s0, v82
	v_add_u32_e32 v70, 0x100, v89
	v_add_u32_e32 v84, 0x3000, v89
	;; [unrolled: 1-line block ×3, first 2 shown]
	v_mad_i32_i24 v94, v136, s0, v83
	v_add_u32_e32 v67, 0x1400, v89
	v_add_u32_e32 v66, 0x2000, v89
	;; [unrolled: 1-line block ×5, first 2 shown]
	s_movk_i32 s0, 0xcd
	v_add_f64 v[156:157], v[34:35], v[36:37]
	v_add_f64 v[158:159], v[172:173], v[30:31]
	v_add_f64 v[160:161], v[32:33], v[174:175]
	v_add_f64 v[162:163], v[22:23], v[176:177]
	v_add_f64 v[164:165], v[24:25], v[178:179]
	v_add_f64 v[166:167], v[36:37], -v[34:35]
	v_add_f64 v[168:169], v[172:173], -v[30:31]
	;; [unrolled: 1-line block ×5, first 2 shown]
	ds_write_b128 v83, v[0:3]
	ds_write_b128 v83, v[4:7] offset:16
	ds_write_b128 v83, v[8:11] offset:32
	ds_write_b128 v83, v[12:15] offset:48
	ds_write_b128 v83, v[16:19] offset:64
	s_waitcnt lgkmcnt(0)
	s_barrier
	ds_read2st64_b64 v[0:3], v89 offset1:9
	v_lshl_add_u32 v91, v128, 3, 0
	ds_read2_b64 v[12:15], v69 offset0:64 offset1:160
	ds_read2_b64 v[107:110], v86 offset0:128 offset1:224
	ds_read2_b64 v[8:11], v88 offset1:96
	ds_read2st64_b64 v[16:19], v70 offset0:13 offset1:16
	ds_read2_b64 v[40:43], v84 offset1:96
	ds_read2_b64 v[36:39], v68 offset0:64 offset1:160
	ds_read_b64 v[58:59], v93
	ds_read_b64 v[56:57], v94
	ds_read2_b64 v[32:35], v67 offset0:32 offset1:128
	ds_read2_b64 v[28:31], v66 offset0:128 offset1:224
	;; [unrolled: 1-line block ×3, first 2 shown]
	v_lshl_add_u32 v85, v141, 3, 0
	ds_read2_b64 v[20:23], v64 offset0:64 offset1:160
	ds_read2_b64 v[4:7], v92 offset0:128 offset1:224
	v_lshl_add_u32 v87, v144, 3, 0
	ds_read_b64 v[204:205], v90
	ds_read_b64 v[206:207], v91
	;; [unrolled: 1-line block ×4, first 2 shown]
	s_waitcnt lgkmcnt(0)
	s_barrier
	ds_write_b128 v125, v[60:63]
	ds_write_b128 v125, v[52:55] offset:16
	ds_write_b128 v125, v[48:51] offset:32
	ds_write_b128 v125, v[76:79] offset:48
	ds_write_b128 v125, v[72:75] offset:64
	ds_write_b128 v82, v[95:98]
	ds_write_b128 v82, v[99:102] offset:16
	ds_write_b128 v82, v[103:106] offset:32
	ds_write_b128 v82, v[148:151] offset:48
	ds_write_b128 v82, v[152:155] offset:64
	;; [unrolled: 5-line block ×3, first 2 shown]
	v_mul_lo_u16_sdwa v48, v120, s0 dst_sel:DWORD dst_unused:UNUSED_PAD src0_sel:BYTE_0 src1_sel:DWORD
	v_lshrrev_b16_e32 v53, 11, v48
	v_mul_lo_u16_e32 v48, 10, v53
	v_sub_u16_e32 v54, v120, v48
	v_mov_b32_e32 v52, 5
	v_mul_u32_u24_sdwa v48, v54, v52 dst_sel:DWORD dst_unused:UNUSED_PAD src0_sel:BYTE_0 src1_sel:DWORD
	v_lshlrev_b32_e32 v48, 4, v48
	s_waitcnt lgkmcnt(0)
	s_barrier
	global_load_dwordx4 v[72:75], v48, s[8:9]
	global_load_dwordx4 v[76:79], v48, s[8:9] offset:16
	global_load_dwordx4 v[95:98], v48, s[8:9] offset:32
	;; [unrolled: 1-line block ×3, first 2 shown]
	v_mul_lo_u16_sdwa v49, v132, s0 dst_sel:DWORD dst_unused:UNUSED_PAD src0_sel:BYTE_0 src1_sel:DWORD
	v_lshrrev_b16_e32 v55, 11, v49
	v_mul_lo_u16_e32 v49, 10, v55
	v_sub_u16_e32 v60, v132, v49
	v_mul_u32_u24_sdwa v49, v60, v52 dst_sel:DWORD dst_unused:UNUSED_PAD src0_sel:BYTE_0 src1_sel:DWORD
	v_lshlrev_b32_e32 v49, 4, v49
	global_load_dwordx4 v[103:106], v49, s[8:9] offset:32
	global_load_dwordx4 v[111:114], v49, s[8:9] offset:48
	s_mov_b32 s0, 0xcccd
	v_mul_u32_u24_sdwa v50, v136, s0 dst_sel:DWORD dst_unused:UNUSED_PAD src0_sel:WORD_0 src1_sel:DWORD
	v_lshrrev_b32_e32 v61, 19, v50
	v_mul_lo_u16_e32 v50, 10, v61
	v_sub_u16_e32 v62, v136, v50
	v_mul_u32_u24_e32 v50, 5, v62
	v_lshlrev_b32_e32 v50, 4, v50
	global_load_dwordx4 v[115:118], v50, s[8:9] offset:32
	global_load_dwordx4 v[148:151], v48, s[8:9] offset:64
	global_load_dwordx4 v[152:155], v49, s[8:9]
	global_load_dwordx4 v[156:159], v49, s[8:9] offset:16
	global_load_dwordx4 v[160:163], v49, s[8:9] offset:64
	;; [unrolled: 1-line block ×3, first 2 shown]
	global_load_dwordx4 v[168:171], v50, s[8:9]
	global_load_dwordx4 v[172:175], v50, s[8:9] offset:16
	ds_read2st64_b64 v[176:179], v89 offset1:9
	ds_read2_b64 v[180:183], v69 offset0:64 offset1:160
	ds_read2_b64 v[184:187], v86 offset0:128 offset1:224
	ds_read2_b64 v[188:191], v88 offset1:96
	ds_read2st64_b64 v[192:195], v70 offset0:13 offset1:16
	ds_read2_b64 v[196:199], v84 offset1:96
	ds_read_b64 v[208:209], v90
	global_load_dwordx4 v[200:203], v50, s[8:9] offset:64
	v_mul_u32_u24_sdwa v63, v141, s0 dst_sel:DWORD dst_unused:UNUSED_PAD src0_sel:WORD_0 src1_sel:DWORD
	ds_read_b64 v[210:211], v91
	ds_read_b64 v[50:51], v85
	;; [unrolled: 1-line block ×3, first 2 shown]
	v_lshrrev_b32_e32 v63, 19, v63
	v_mul_lo_u16_e32 v71, 10, v63
	v_sub_u16_e32 v71, v141, v71
	s_mov_b32 s4, 0xe8584caa
	s_mov_b32 s5, 0x3febb67a
	;; [unrolled: 1-line block ×4, first 2 shown]
	s_movk_i32 s14, 0x2000
	s_movk_i32 s11, 0x3000
	;; [unrolled: 1-line block ×3, first 2 shown]
	s_waitcnt vmcnt(14) lgkmcnt(3)
	v_mul_f64 v[212:213], v[208:209], v[74:75]
	s_waitcnt vmcnt(13) lgkmcnt(2)
	v_mul_f64 v[214:215], v[210:211], v[78:79]
	v_mul_f64 v[216:217], v[206:207], v[78:79]
	v_mul_u32_u24_e32 v78, 5, v71
	v_lshlrev_b32_e32 v119, 4, v78
	global_load_dwordx4 v[78:81], v119, s[8:9]
	v_mul_f64 v[74:75], v[204:205], v[74:75]
	s_waitcnt vmcnt(13)
	v_mul_f64 v[218:219], v[182:183], v[97:98]
	v_mul_f64 v[97:98], v[14:15], v[97:98]
	v_fma_f64 v[220:221], v[204:205], v[72:73], -v[212:213]
	v_fma_f64 v[224:225], v[206:207], v[76:77], -v[214:215]
	v_fma_f64 v[76:77], v[210:211], v[76:77], v[216:217]
	s_waitcnt vmcnt(11)
	v_mul_f64 v[230:231], v[196:197], v[105:106]
	v_mul_f64 v[232:233], v[40:41], v[105:106]
	v_fma_f64 v[222:223], v[208:209], v[72:73], v[74:75]
	global_load_dwordx4 v[72:75], v119, s[8:9] offset:32
	global_load_dwordx4 v[204:207], v119, s[8:9] offset:16
	v_fma_f64 v[226:227], v[14:15], v[95:96], -v[218:219]
	v_fma_f64 v[228:229], v[182:183], v[95:96], v[97:98]
	global_load_dwordx4 v[95:98], v119, s[8:9] offset:48
	global_load_dwordx4 v[208:211], v119, s[8:9] offset:64
	v_mul_u32_u24_sdwa v14, v144, s0 dst_sel:DWORD dst_unused:UNUSED_PAD src0_sel:WORD_0 src1_sel:DWORD
	v_lshrrev_b32_e32 v14, 19, v14
	v_mul_lo_u16_e32 v15, 10, v14
	v_sub_u16_e32 v15, v144, v15
	v_mul_u32_u24_e32 v119, 5, v15
	v_lshlrev_b32_e32 v119, 4, v119
	v_mul_f64 v[182:183], v[184:185], v[101:102]
	v_mul_f64 v[101:102], v[107:108], v[101:102]
	global_load_dwordx4 v[212:215], v119, s[8:9] offset:16
	global_load_dwordx4 v[216:219], v119, s[8:9]
	s_waitcnt vmcnt(16)
	v_mul_f64 v[238:239], v[186:187], v[113:114]
	v_mul_f64 v[113:114], v[109:110], v[113:114]
	v_fma_f64 v[230:231], v[40:41], v[103:104], -v[230:231]
	v_fma_f64 v[103:104], v[196:197], v[103:104], v[232:233]
	s_waitcnt vmcnt(15)
	v_mul_f64 v[40:41], v[198:199], v[117:118]
	v_fma_f64 v[234:235], v[107:108], v[99:100], -v[182:183]
	v_fma_f64 v[236:237], v[184:185], v[99:100], v[101:102]
	global_load_dwordx4 v[99:102], v119, s[8:9] offset:48
	global_load_dwordx4 v[105:108], v119, s[8:9] offset:32
	v_fma_f64 v[196:197], v[109:110], v[111:112], -v[238:239]
	v_fma_f64 v[186:187], v[186:187], v[111:112], v[113:114]
	global_load_dwordx4 v[109:112], v119, s[8:9] offset:64
	v_mul_f64 v[117:118], v[42:43], v[117:118]
	s_waitcnt vmcnt(17)
	v_mul_f64 v[232:233], v[190:191], v[150:151]
	v_mul_f64 v[113:114], v[10:11], v[150:151]
	ds_read2_b64 v[182:185], v68 offset0:64 offset1:160
	s_waitcnt vmcnt(16)
	v_mul_f64 v[150:151], v[178:179], v[154:155]
	v_fma_f64 v[238:239], v[42:43], v[115:116], -v[40:41]
	ds_read2_b64 v[40:43], v67 offset0:32 offset1:128
	v_cmp_gt_u32_e64 s[0:1], 60, v120
	v_fma_f64 v[117:118], v[198:199], v[115:116], v[117:118]
	v_mul_f64 v[115:116], v[2:3], v[154:155]
	s_waitcnt vmcnt(15)
	v_mul_f64 v[154:155], v[194:195], v[158:159]
	v_mul_f64 v[158:159], v[18:19], v[158:159]
	v_fma_f64 v[10:11], v[10:11], v[148:149], -v[232:233]
	v_fma_f64 v[190:191], v[190:191], v[148:149], v[113:114]
	s_waitcnt vmcnt(14) lgkmcnt(1)
	v_mul_f64 v[148:149], v[182:183], v[162:163]
	v_fma_f64 v[2:3], v[2:3], v[152:153], -v[150:151]
	v_mul_f64 v[150:151], v[36:37], v[162:163]
	v_fma_f64 v[152:153], v[178:179], v[152:153], v[115:116]
	ds_read2_b64 v[113:116], v66 offset0:128 offset1:224
	v_fma_f64 v[18:19], v[18:19], v[156:157], -v[154:155]
	v_fma_f64 v[154:155], v[194:195], v[156:157], v[158:159]
	s_waitcnt vmcnt(12) lgkmcnt(1)
	v_mul_f64 v[156:157], v[40:41], v[170:171]
	v_fma_f64 v[162:163], v[36:37], v[160:161], -v[148:149]
	s_waitcnt vmcnt(11) lgkmcnt(0)
	v_mul_f64 v[36:37], v[113:114], v[174:175]
	v_mul_f64 v[158:159], v[32:33], v[170:171]
	;; [unrolled: 1-line block ×3, first 2 shown]
	v_fma_f64 v[160:161], v[182:183], v[160:161], v[150:151]
	ds_read2_b64 v[148:151], v65 offset0:64 offset1:160
	v_fma_f64 v[156:157], v[32:33], v[168:169], -v[156:157]
	s_waitcnt vmcnt(10)
	v_mul_f64 v[32:33], v[184:185], v[202:203]
	v_fma_f64 v[28:29], v[28:29], v[172:173], -v[36:37]
	v_mul_f64 v[36:37], v[38:39], v[202:203]
	v_fma_f64 v[40:41], v[40:41], v[168:169], v[158:159]
	v_fma_f64 v[113:114], v[113:114], v[172:173], v[170:171]
	s_waitcnt lgkmcnt(0)
	v_mul_f64 v[158:159], v[148:149], v[166:167]
	ds_read_b64 v[172:173], v93
	ds_read_b64 v[174:175], v94
	v_fma_f64 v[168:169], v[38:39], v[200:201], -v[32:33]
	v_mul_f64 v[32:33], v[24:25], v[166:167]
	v_fma_f64 v[166:167], v[184:185], v[200:201], v[36:37]
	ds_read2_b64 v[36:39], v64 offset0:64 offset1:160
	v_fma_f64 v[24:25], v[24:25], v[164:165], -v[158:159]
	s_waitcnt vmcnt(9)
	v_mul_f64 v[170:171], v[42:43], v[80:81]
	v_mul_f64 v[80:81], v[34:35], v[80:81]
	v_fma_f64 v[148:149], v[148:149], v[164:165], v[32:33]
	v_add_f64 v[194:195], v[117:118], v[166:167]
	v_fma_f64 v[164:165], v[34:35], v[78:79], -v[170:171]
	v_fma_f64 v[42:43], v[42:43], v[78:79], v[80:81]
	s_waitcnt vmcnt(8) lgkmcnt(0)
	v_mul_f64 v[78:79], v[36:37], v[74:75]
	v_mul_f64 v[74:75], v[20:21], v[74:75]
	s_waitcnt vmcnt(6)
	v_mul_f64 v[80:81], v[150:151], v[97:98]
	v_mul_f64 v[97:98], v[26:27], v[97:98]
	;; [unrolled: 1-line block ×3, first 2 shown]
	ds_read2_b64 v[32:35], v92 offset0:128 offset1:224
	v_mul_f64 v[170:171], v[30:31], v[206:207]
	s_waitcnt lgkmcnt(0)
	v_fma_f64 v[20:21], v[20:21], v[72:73], -v[78:79]
	v_fma_f64 v[36:37], v[36:37], v[72:73], v[74:75]
	s_waitcnt vmcnt(5)
	v_mul_f64 v[72:73], v[4:5], v[210:211]
	v_fma_f64 v[26:27], v[26:27], v[95:96], -v[80:81]
	s_waitcnt vmcnt(3)
	v_mul_f64 v[74:75], v[192:193], v[218:219]
	v_fma_f64 v[78:79], v[150:151], v[95:96], v[97:98]
	v_mul_f64 v[95:96], v[180:181], v[214:215]
	v_mul_f64 v[97:98], v[12:13], v[214:215]
	v_fma_f64 v[30:31], v[30:31], v[204:205], -v[158:159]
	v_mul_f64 v[158:159], v[32:33], v[210:211]
	v_mul_f64 v[80:81], v[16:17], v[218:219]
	v_fma_f64 v[32:33], v[32:33], v[208:209], v[72:73]
	s_waitcnt vmcnt(1)
	v_mul_f64 v[72:73], v[38:39], v[107:108]
	v_fma_f64 v[16:17], v[16:17], v[216:217], -v[74:75]
	v_mul_f64 v[74:75], v[22:23], v[107:108]
	v_mul_f64 v[107:108], v[188:189], v[101:102]
	v_fma_f64 v[12:13], v[12:13], v[212:213], -v[95:96]
	v_fma_f64 v[95:96], v[180:181], v[212:213], v[97:98]
	v_mul_f64 v[97:98], v[8:9], v[101:102]
	v_add_f64 v[101:102], v[0:1], v[224:225]
	v_fma_f64 v[22:23], v[22:23], v[105:106], -v[72:73]
	s_waitcnt vmcnt(0)
	v_mul_f64 v[72:73], v[34:35], v[111:112]
	v_fma_f64 v[38:39], v[38:39], v[105:106], v[74:75]
	v_add_f64 v[74:75], v[224:225], v[234:235]
	v_fma_f64 v[8:9], v[8:9], v[99:100], -v[107:108]
	v_add_f64 v[105:106], v[226:227], v[10:11]
	v_fma_f64 v[97:98], v[188:189], v[99:100], v[97:98]
	v_add_f64 v[99:100], v[228:229], v[190:191]
	v_add_f64 v[107:108], v[228:229], -v[190:191]
	v_fma_f64 v[72:73], v[6:7], v[109:110], -v[72:73]
	v_mul_f64 v[6:7], v[6:7], v[111:112]
	v_fma_f64 v[0:1], v[74:75], -0.5, v[0:1]
	v_add_f64 v[74:75], v[76:77], -v[236:237]
	v_fma_f64 v[105:106], v[105:106], -0.5, v[220:221]
	v_add_f64 v[111:112], v[226:227], -v[10:11]
	v_fma_f64 v[99:100], v[99:100], -0.5, v[222:223]
	v_fma_f64 v[115:116], v[115:116], v[204:205], v[170:171]
	v_fma_f64 v[4:5], v[4:5], v[208:209], -v[158:159]
	v_add_f64 v[158:159], v[76:77], v[236:237]
	v_add_f64 v[76:77], v[176:177], v[76:77]
	v_fma_f64 v[150:151], v[74:75], s[4:5], v[0:1]
	v_fma_f64 v[0:1], v[74:75], s[6:7], v[0:1]
	;; [unrolled: 1-line block ×6, first 2 shown]
	v_fma_f64 v[107:108], v[158:159], -0.5, v[176:177]
	v_add_f64 v[111:112], v[224:225], -v[234:235]
	v_add_f64 v[158:159], v[220:221], v[226:227]
	v_add_f64 v[180:181], v[222:223], v[228:229]
	v_mul_f64 v[178:179], v[170:171], -0.5
	v_mul_f64 v[176:177], v[74:75], s[4:5]
	v_mul_f64 v[182:183], v[105:106], s[6:7]
	v_mul_f64 v[184:185], v[99:100], -0.5
	v_add_f64 v[101:102], v[101:102], v[234:235]
	v_fma_f64 v[188:189], v[111:112], s[6:7], v[107:108]
	v_add_f64 v[10:11], v[158:159], v[10:11]
	v_add_f64 v[158:159], v[180:181], v[190:191]
	v_fma_f64 v[99:100], v[99:100], s[4:5], v[178:179]
	v_fma_f64 v[105:106], v[105:106], 0.5, v[176:177]
	v_fma_f64 v[74:75], v[74:75], 0.5, v[182:183]
	v_fma_f64 v[107:108], v[111:112], s[4:5], v[107:108]
	v_fma_f64 v[111:112], v[170:171], s[6:7], v[184:185]
	v_add_f64 v[180:181], v[18:19], v[196:197]
	v_add_f64 v[184:185], v[230:231], v[162:163]
	;; [unrolled: 1-line block ×4, first 2 shown]
	v_fma_f64 v[6:7], v[34:35], v[109:110], v[6:7]
	v_add_f64 v[34:35], v[101:102], v[10:11]
	v_add_f64 v[109:110], v[150:151], v[105:106]
	;; [unrolled: 1-line block ×4, first 2 shown]
	v_add_f64 v[10:11], v[101:102], -v[10:11]
	v_add_f64 v[101:102], v[150:151], -v[105:106]
	;; [unrolled: 1-line block ×3, first 2 shown]
	v_add_f64 v[99:100], v[58:59], v[18:19]
	v_fma_f64 v[58:59], v[180:181], -0.5, v[58:59]
	v_add_f64 v[105:106], v[154:155], -v[186:187]
	v_fma_f64 v[150:151], v[184:185], -0.5, v[2:3]
	v_fma_f64 v[180:181], v[190:191], -0.5, v[152:153]
	v_add_f64 v[184:185], v[230:231], -v[162:163]
	v_add_f64 v[190:191], v[103:104], -v[160:161]
	;; [unrolled: 1-line block ×3, first 2 shown]
	v_add_f64 v[74:75], v[154:155], v[186:187]
	v_fma_f64 v[80:81], v[192:193], v[216:217], v[80:81]
	v_add_f64 v[176:177], v[76:77], v[158:159]
	v_add_f64 v[158:159], v[76:77], -v[158:159]
	v_add_f64 v[76:77], v[99:100], v[196:197]
	v_fma_f64 v[99:100], v[105:106], s[4:5], v[58:59]
	v_fma_f64 v[58:59], v[105:106], s[6:7], v[58:59]
	;; [unrolled: 1-line block ×4, first 2 shown]
	v_add_f64 v[154:155], v[172:173], v[154:155]
	v_fma_f64 v[74:75], v[74:75], -0.5, v[172:173]
	v_fma_f64 v[172:173], v[184:185], s[4:5], v[180:181]
	v_fma_f64 v[150:151], v[190:191], s[4:5], v[150:151]
	v_add_f64 v[18:19], v[18:19], -v[196:197]
	v_add_f64 v[2:3], v[2:3], v[230:231]
	v_mul_f64 v[180:181], v[105:106], s[4:5]
	v_mul_f64 v[184:185], v[192:193], -0.5
	v_add_f64 v[103:104], v[152:153], v[103:104]
	v_add_f64 v[154:155], v[154:155], v[186:187]
	v_mul_f64 v[186:187], v[172:173], -0.5
	v_mul_f64 v[152:153], v[150:151], s[6:7]
	v_fma_f64 v[190:191], v[18:19], s[6:7], v[74:75]
	v_add_f64 v[2:3], v[2:3], v[162:163]
	v_fma_f64 v[150:151], v[150:151], 0.5, v[180:181]
	v_fma_f64 v[162:163], v[172:173], s[4:5], v[184:185]
	v_add_f64 v[103:104], v[103:104], v[160:161]
	v_fma_f64 v[18:19], v[18:19], s[4:5], v[74:75]
	v_fma_f64 v[74:75], v[192:193], s[6:7], v[186:187]
	v_add_f64 v[184:185], v[28:29], v[24:25]
	v_add_f64 v[192:193], v[238:239], v[168:169]
	v_add_f64 v[182:183], v[107:108], v[111:112]
	v_fma_f64 v[105:106], v[105:106], 0.5, v[152:153]
	v_add_f64 v[107:108], v[107:108], -v[111:112]
	v_add_f64 v[111:112], v[76:77], v[2:3]
	v_add_f64 v[152:153], v[99:100], v[150:151]
	;; [unrolled: 1-line block ×4, first 2 shown]
	v_add_f64 v[2:3], v[76:77], -v[2:3]
	v_add_f64 v[76:77], v[99:100], -v[150:151]
	;; [unrolled: 1-line block ×3, first 2 shown]
	v_add_f64 v[99:100], v[56:57], v[28:29]
	v_fma_f64 v[56:57], v[184:185], -0.5, v[56:57]
	v_add_f64 v[150:151], v[113:114], -v[148:149]
	v_fma_f64 v[162:163], v[192:193], -0.5, v[156:157]
	v_fma_f64 v[184:185], v[194:195], -0.5, v[40:41]
	v_add_f64 v[192:193], v[238:239], -v[168:169]
	v_add_f64 v[194:195], v[117:118], -v[166:167]
	;; [unrolled: 1-line block ×3, first 2 shown]
	v_add_f64 v[154:155], v[113:114], v[148:149]
	v_add_f64 v[180:181], v[190:191], v[105:106]
	v_add_f64 v[105:106], v[190:191], -v[105:106]
	v_fma_f64 v[190:191], v[150:151], s[4:5], v[56:57]
	v_fma_f64 v[56:57], v[150:151], s[6:7], v[56:57]
	;; [unrolled: 1-line block ×4, first 2 shown]
	v_add_f64 v[113:114], v[174:175], v[113:114]
	v_fma_f64 v[154:155], v[154:155], -0.5, v[174:175]
	v_fma_f64 v[174:175], v[192:193], s[4:5], v[184:185]
	v_add_f64 v[99:100], v[99:100], v[24:25]
	v_fma_f64 v[162:163], v[194:195], s[4:5], v[162:163]
	v_add_f64 v[24:25], v[28:29], -v[24:25]
	v_add_f64 v[28:29], v[156:157], v[238:239]
	v_mul_f64 v[156:157], v[150:151], s[4:5]
	v_mul_f64 v[184:185], v[196:197], -0.5
	v_add_f64 v[113:114], v[113:114], v[148:149]
	v_mul_f64 v[148:149], v[174:175], -0.5
	v_add_f64 v[40:41], v[40:41], v[117:118]
	v_mul_f64 v[117:118], v[162:163], s[6:7]
	v_add_f64 v[194:195], v[20:21], v[4:5]
	v_add_f64 v[28:29], v[28:29], v[168:169]
	v_fma_f64 v[156:157], v[162:163], 0.5, v[156:157]
	v_fma_f64 v[162:163], v[174:175], s[4:5], v[184:185]
	v_add_f64 v[174:175], v[30:31], v[26:27]
	v_fma_f64 v[148:149], v[196:197], s[6:7], v[148:149]
	v_add_f64 v[196:197], v[36:37], v[32:33]
	v_add_f64 v[186:187], v[18:19], v[74:75]
	v_fma_f64 v[192:193], v[24:25], s[6:7], v[154:155]
	v_add_f64 v[40:41], v[40:41], v[166:167]
	v_fma_f64 v[117:118], v[150:151], 0.5, v[117:118]
	v_fma_f64 v[24:25], v[24:25], s[4:5], v[154:155]
	v_add_f64 v[150:151], v[18:19], -v[74:75]
	v_add_f64 v[18:19], v[99:100], v[28:29]
	v_add_f64 v[74:75], v[190:191], v[156:157]
	;; [unrolled: 1-line block ×3, first 2 shown]
	v_add_f64 v[28:29], v[99:100], -v[28:29]
	v_add_f64 v[99:100], v[190:191], -v[156:157]
	;; [unrolled: 1-line block ×3, first 2 shown]
	v_add_f64 v[156:157], v[46:47], v[30:31]
	v_fma_f64 v[46:47], v[174:175], -0.5, v[46:47]
	v_add_f64 v[162:163], v[115:116], -v[78:79]
	v_fma_f64 v[174:175], v[194:195], -0.5, v[164:165]
	v_fma_f64 v[190:191], v[196:197], -0.5, v[42:43]
	v_add_f64 v[194:195], v[20:21], -v[4:5]
	v_add_f64 v[196:197], v[36:37], -v[32:33]
	v_add_f64 v[166:167], v[113:114], v[40:41]
	v_add_f64 v[168:169], v[192:193], v[117:118]
	v_add_f64 v[113:114], v[113:114], -v[40:41]
	v_add_f64 v[117:118], v[192:193], -v[117:118]
	v_add_f64 v[40:41], v[115:116], v[78:79]
	v_fma_f64 v[192:193], v[162:163], s[4:5], v[46:47]
	v_fma_f64 v[46:47], v[162:163], s[6:7], v[46:47]
	;; [unrolled: 1-line block ×4, first 2 shown]
	v_add_f64 v[156:157], v[156:157], v[26:27]
	v_add_f64 v[115:116], v[50:51], v[115:116]
	v_fma_f64 v[174:175], v[196:197], s[4:5], v[174:175]
	v_fma_f64 v[40:41], v[40:41], -0.5, v[50:51]
	v_fma_f64 v[50:51], v[194:195], s[4:5], v[190:191]
	v_add_f64 v[26:27], v[30:31], -v[26:27]
	v_add_f64 v[20:21], v[164:165], v[20:21]
	v_mul_f64 v[30:31], v[162:163], s[4:5]
	v_mul_f64 v[164:165], v[198:199], -0.5
	v_add_f64 v[36:37], v[42:43], v[36:37]
	v_add_f64 v[78:79], v[115:116], v[78:79]
	;; [unrolled: 1-line block ×3, first 2 shown]
	v_mul_f64 v[115:116], v[50:51], -0.5
	v_add_f64 v[196:197], v[38:39], v[6:7]
	v_add_f64 v[4:5], v[20:21], v[4:5]
	v_fma_f64 v[20:21], v[174:175], 0.5, v[30:31]
	v_fma_f64 v[30:31], v[50:51], s[4:5], v[164:165]
	v_add_f64 v[164:165], v[12:13], v[8:9]
	v_mul_f64 v[42:43], v[174:175], s[6:7]
	v_fma_f64 v[190:191], v[26:27], s[6:7], v[40:41]
	v_add_f64 v[32:33], v[36:37], v[32:33]
	v_fma_f64 v[26:27], v[26:27], s[4:5], v[40:41]
	v_fma_f64 v[40:41], v[198:199], s[6:7], v[115:116]
	v_add_f64 v[50:51], v[192:193], v[20:21]
	v_add_f64 v[115:116], v[46:47], v[30:31]
	v_add_f64 v[20:21], v[192:193], -v[20:21]
	v_add_f64 v[30:31], v[46:47], -v[30:31]
	v_add_f64 v[46:47], v[44:45], v[12:13]
	v_fma_f64 v[44:45], v[164:165], -0.5, v[44:45]
	v_fma_f64 v[164:165], v[194:195], -0.5, v[16:17]
	;; [unrolled: 1-line block ×3, first 2 shown]
	v_add_f64 v[194:195], v[22:23], -v[72:73]
	v_add_f64 v[184:185], v[24:25], v[148:149]
	v_fma_f64 v[36:37], v[162:163], 0.5, v[42:43]
	v_add_f64 v[42:43], v[24:25], -v[148:149]
	v_add_f64 v[24:25], v[156:157], v[4:5]
	v_add_f64 v[4:5], v[156:157], -v[4:5]
	v_add_f64 v[156:157], v[95:96], -v[97:98]
	;; [unrolled: 1-line block ×3, first 2 shown]
	v_add_f64 v[148:149], v[78:79], v[32:33]
	v_add_f64 v[198:199], v[95:96], v[97:98]
	v_add_f64 v[200:201], v[78:79], -v[32:33]
	v_add_f64 v[78:79], v[48:49], v[95:96]
	v_fma_f64 v[95:96], v[194:195], s[6:7], v[192:193]
	v_add_f64 v[32:33], v[46:47], v[8:9]
	v_fma_f64 v[46:47], v[156:157], s[4:5], v[44:45]
	v_fma_f64 v[44:45], v[156:157], s[6:7], v[44:45]
	;; [unrolled: 1-line block ×5, first 2 shown]
	v_add_f64 v[16:17], v[16:17], v[22:23]
	v_mul_f64 v[22:23], v[95:96], s[4:5]
	v_fma_f64 v[48:49], v[198:199], -0.5, v[48:49]
	v_add_f64 v[8:9], v[12:13], -v[8:9]
	v_add_f64 v[12:13], v[78:79], v[97:98]
	v_mul_f64 v[78:79], v[156:157], -0.5
	v_add_f64 v[38:39], v[80:81], v[38:39]
	v_mul_f64 v[80:81], v[164:165], s[6:7]
	v_mul_f64 v[97:98], v[192:193], -0.5
	v_add_f64 v[16:17], v[16:17], v[72:73]
	v_fma_f64 v[22:23], v[164:165], 0.5, v[22:23]
	v_fma_f64 v[194:195], v[8:9], s[6:7], v[48:49]
	v_fma_f64 v[8:9], v[8:9], s[4:5], v[48:49]
	;; [unrolled: 1-line block ×3, first 2 shown]
	v_add_f64 v[6:7], v[38:39], v[6:7]
	v_add_f64 v[162:163], v[190:191], v[36:37]
	;; [unrolled: 1-line block ×3, first 2 shown]
	v_fma_f64 v[38:39], v[95:96], 0.5, v[80:81]
	v_fma_f64 v[72:73], v[156:157], s[6:7], v[97:98]
	v_add_f64 v[79:80], v[190:191], -v[36:37]
	v_add_f64 v[156:157], v[26:27], -v[40:41]
	v_add_f64 v[26:27], v[32:33], v[16:17]
	v_add_f64 v[36:37], v[46:47], v[22:23]
	v_mov_b32_e32 v41, 3
	v_add_f64 v[95:96], v[44:45], v[48:49]
	v_add_f64 v[164:165], v[12:13], v[6:7]
	v_add_f64 v[16:17], v[32:33], -v[16:17]
	v_add_f64 v[32:33], v[44:45], -v[48:49]
	;; [unrolled: 1-line block ×3, first 2 shown]
	v_mul_u32_u24_e32 v6, 0x1e0, v53
	v_lshlrev_b32_sdwa v7, v41, v54 dst_sel:DWORD dst_unused:UNUSED_PAD src0_sel:DWORD src1_sel:BYTE_0
	v_add_f64 v[22:23], v[46:47], -v[22:23]
	v_add3_u32 v40, 0, v6, v7
	s_barrier
	ds_write2_b64 v40, v[34:35], v[109:110] offset1:10
	ds_write2_b64 v40, v[170:171], v[10:11] offset0:20 offset1:30
	ds_write2_b64 v40, v[101:102], v[0:1] offset0:40 offset1:50
	v_mul_u32_u24_e32 v0, 0x1e0, v55
	v_lshlrev_b32_sdwa v1, v41, v60 dst_sel:DWORD dst_unused:UNUSED_PAD src0_sel:DWORD src1_sel:BYTE_0
	v_add3_u32 v34, 0, v0, v1
	v_mul_u32_u24_e32 v0, 0x1e0, v61
	v_lshlrev_b32_e32 v1, 3, v62
	v_add3_u32 v35, 0, v0, v1
	v_mul_u32_u24_e32 v0, 0x1e0, v63
	v_lshlrev_b32_e32 v1, 3, v71
	;; [unrolled: 3-line block ×3, first 2 shown]
	v_add3_u32 v49, 0, v0, v1
	v_add_f64 v[190:191], v[194:195], v[38:39]
	v_add_f64 v[192:193], v[8:9], v[72:73]
	v_add_f64 v[38:39], v[194:195], -v[38:39]
	v_add_f64 v[46:47], v[8:9], -v[72:73]
	ds_write2_b64 v34, v[111:112], v[152:153] offset1:10
	ds_write2_b64 v34, v[160:161], v[2:3] offset0:20 offset1:30
	ds_write2_b64 v34, v[76:77], v[58:59] offset0:40 offset1:50
	ds_write2_b64 v35, v[18:19], v[74:75] offset1:10
	ds_write2_b64 v35, v[154:155], v[28:29] offset0:20 offset1:30
	ds_write2_b64 v35, v[99:100], v[56:57] offset0:40 offset1:50
	;; [unrolled: 3-line block ×4, first 2 shown]
	s_waitcnt lgkmcnt(0)
	s_barrier
	ds_read2st64_b64 v[0:3], v89 offset1:9
	ds_read2_b64 v[12:15], v69 offset0:64 offset1:160
	ds_read2_b64 v[53:56], v86 offset0:128 offset1:224
	ds_read2_b64 v[4:7], v88 offset1:96
	ds_read2st64_b64 v[16:19], v70 offset0:13 offset1:16
	ds_read2_b64 v[57:60], v84 offset1:96
	ds_read2_b64 v[71:74], v68 offset0:64 offset1:160
	ds_read_b64 v[36:37], v93
	ds_read_b64 v[32:33], v94
	ds_read2_b64 v[75:78], v67 offset0:32 offset1:128
	ds_read2_b64 v[95:98], v66 offset0:128 offset1:224
	;; [unrolled: 1-line block ×5, first 2 shown]
	ds_read_b64 v[50:51], v90
	ds_read_b64 v[61:62], v91
	;; [unrolled: 1-line block ×4, first 2 shown]
	s_waitcnt lgkmcnt(0)
	s_barrier
	ds_write2_b64 v40, v[176:177], v[178:179] offset1:10
	ds_write2_b64 v40, v[182:183], v[158:159] offset0:20 offset1:30
	ds_write2_b64 v40, v[188:189], v[107:108] offset0:40 offset1:50
	ds_write2_b64 v34, v[172:173], v[180:181] offset1:10
	ds_write2_b64 v34, v[186:187], v[103:104] offset0:20 offset1:30
	ds_write2_b64 v34, v[105:106], v[150:151] offset0:40 offset1:50
	;; [unrolled: 3-line block ×5, first 2 shown]
	v_subrev_u32_e32 v34, 60, v120
	v_cndmask_b32_e64 v42, v34, v120, s[0:1]
	v_mul_i32_i24_e32 v43, 5, v42
	v_mov_b32_e32 v44, 0
	v_lshlrev_b64 v[34:35], 4, v[43:44]
	v_mov_b32_e32 v40, s9
	v_add_co_u32_e64 v34, s[0:1], s8, v34
	v_addc_co_u32_e64 v35, s[0:1], v40, v35, s[0:1]
	s_waitcnt lgkmcnt(0)
	s_barrier
	global_load_dwordx4 v[99:102], v[34:35], off offset:800
	global_load_dwordx4 v[103:106], v[34:35], off offset:816
	;; [unrolled: 1-line block ×5, first 2 shown]
	s_movk_i32 s0, 0x89
	v_mul_lo_u16_sdwa v38, v132, s0 dst_sel:DWORD dst_unused:UNUSED_PAD src0_sel:BYTE_0 src1_sel:DWORD
	v_lshrrev_b16_e32 v43, 13, v38
	v_mul_lo_u16_e32 v38, 60, v43
	v_sub_u16_e32 v45, v132, v38
	v_mul_u32_u24_sdwa v34, v45, v52 dst_sel:DWORD dst_unused:UNUSED_PAD src0_sel:BYTE_0 src1_sel:DWORD
	v_lshlrev_b32_e32 v34, 4, v34
	global_load_dwordx4 v[148:151], v34, s[8:9] offset:848
	global_load_dwordx4 v[152:155], v34, s[8:9] offset:800
	;; [unrolled: 1-line block ×4, first 2 shown]
	s_mov_b32 s0, 0x8889
	v_mul_u32_u24_sdwa v35, v136, s0 dst_sel:DWORD dst_unused:UNUSED_PAD src0_sel:WORD_0 src1_sel:DWORD
	v_lshrrev_b32_e32 v46, 21, v35
	v_mul_lo_u16_e32 v35, 60, v46
	v_sub_u16_e32 v47, v136, v35
	v_mul_u32_u24_e32 v35, 5, v47
	v_lshlrev_b32_e32 v49, 4, v35
	global_load_dwordx4 v[164:167], v49, s[8:9] offset:832
	global_load_dwordx4 v[168:171], v34, s[8:9] offset:864
	;; [unrolled: 1-line block ×5, first 2 shown]
	v_mul_u32_u24_sdwa v48, v141, s0 dst_sel:DWORD dst_unused:UNUSED_PAD src0_sel:WORD_0 src1_sel:DWORD
	v_lshrrev_b32_e32 v48, 21, v48
	ds_read2st64_b64 v[184:187], v89 offset1:9
	ds_read2_b64 v[188:191], v69 offset0:64 offset1:160
	ds_read2_b64 v[192:195], v86 offset0:128 offset1:224
	ds_read2_b64 v[196:199], v88 offset1:96
	ds_read_b64 v[79:80], v90
	ds_read2st64_b64 v[200:203], v70 offset0:13 offset1:16
	ds_read_b64 v[69:70], v91
	ds_read_b64 v[38:39], v85
	;; [unrolled: 1-line block ×3, first 2 shown]
	global_load_dwordx4 v[204:207], v49, s[8:9] offset:864
	v_mul_lo_u16_e32 v49, 60, v48
	v_sub_u16_e32 v49, v141, v49
	v_mul_u32_u24_e32 v52, 5, v49
	v_lshlrev_b32_e32 v52, 4, v52
	global_load_dwordx4 v[208:211], v52, s[8:9] offset:800
	ds_read2_b64 v[212:215], v84 offset1:96
	global_load_dwordx4 v[216:219], v52, s[8:9] offset:832
	global_load_dwordx4 v[220:223], v52, s[8:9] offset:816
	s_waitcnt vmcnt(17) lgkmcnt(5)
	v_mul_f64 v[224:225], v[79:80], v[101:102]
	v_mul_f64 v[101:102], v[50:51], v[101:102]
	s_waitcnt vmcnt(16) lgkmcnt(3)
	v_mul_f64 v[226:227], v[69:70], v[105:106]
	v_mul_f64 v[105:106], v[61:62], v[105:106]
	s_waitcnt vmcnt(15)
	v_mul_f64 v[228:229], v[190:191], v[109:110]
	v_fma_f64 v[236:237], v[50:51], v[99:100], -v[224:225]
	v_fma_f64 v[79:80], v[79:80], v[99:100], v[101:102]
	v_fma_f64 v[238:239], v[61:62], v[103:104], -v[226:227]
	v_fma_f64 v[240:241], v[69:70], v[103:104], v[105:106]
	v_mul_f64 v[50:51], v[14:15], v[109:110]
	global_load_dwordx4 v[99:102], v52, s[8:9] offset:848
	global_load_dwordx4 v[103:106], v52, s[8:9] offset:864
	v_fma_f64 v[242:243], v[14:15], v[107:108], -v[228:229]
	v_mul_u32_u24_sdwa v14, v144, s0 dst_sel:DWORD dst_unused:UNUSED_PAD src0_sel:WORD_0 src1_sel:DWORD
	v_lshrrev_b32_e32 v14, 21, v14
	v_mul_lo_u16_e32 v15, 60, v14
	v_sub_u16_e32 v15, v144, v15
	v_mul_u32_u24_e32 v52, 5, v15
	v_lshlrev_b32_e32 v63, 4, v52
	global_load_dwordx4 v[224:227], v63, s[8:9] offset:816
	global_load_dwordx4 v[228:231], v63, s[8:9] offset:800
	v_fma_f64 v[190:191], v[190:191], v[107:108], v[50:51]
	global_load_dwordx4 v[107:110], v63, s[8:9] offset:848
	global_load_dwordx4 v[232:235], v63, s[8:9] offset:832
	s_waitcnt vmcnt(20)
	v_mul_f64 v[61:62], v[192:193], v[113:114]
	v_mul_f64 v[69:70], v[53:54], v[113:114]
	s_waitcnt vmcnt(19)
	v_mul_f64 v[50:51], v[198:199], v[117:118]
	v_mul_f64 v[113:114], v[6:7], v[117:118]
	s_waitcnt vmcnt(18)
	v_mul_f64 v[117:118], v[194:195], v[150:151]
	v_cmp_lt_u32_e64 s[0:1], 59, v120
	v_fma_f64 v[244:245], v[53:54], v[111:112], -v[61:62]
	v_fma_f64 v[192:193], v[192:193], v[111:112], v[69:70]
	v_fma_f64 v[6:7], v[6:7], v[115:116], -v[50:51]
	v_fma_f64 v[115:116], v[198:199], v[115:116], v[113:114]
	global_load_dwordx4 v[111:114], v63, s[8:9] offset:864
	v_mul_f64 v[61:62], v[55:56], v[150:151]
	s_waitcnt vmcnt(18)
	v_mul_f64 v[69:70], v[186:187], v[154:155]
	v_fma_f64 v[117:118], v[55:56], v[148:149], -v[117:118]
	v_mul_f64 v[54:55], v[2:3], v[154:155]
	s_waitcnt vmcnt(17)
	v_mul_f64 v[150:151], v[202:203], v[158:159]
	s_waitcnt vmcnt(16) lgkmcnt(0)
	v_mul_f64 v[154:155], v[212:213], v[162:163]
	ds_read2_b64 v[50:53], v68 offset0:64 offset1:160
	v_fma_f64 v[148:149], v[194:195], v[148:149], v[61:62]
	v_mul_f64 v[61:62], v[18:19], v[158:159]
	v_mul_f64 v[158:159], v[57:58], v[162:163]
	v_fma_f64 v[2:3], v[2:3], v[152:153], -v[69:70]
	v_fma_f64 v[152:153], v[186:187], v[152:153], v[54:55]
	v_fma_f64 v[18:19], v[18:19], v[156:157], -v[150:151]
	s_waitcnt vmcnt(15)
	v_mul_f64 v[54:55], v[214:215], v[166:167]
	ds_read2_b64 v[67:70], v67 offset0:32 offset1:128
	v_fma_f64 v[154:155], v[57:58], v[160:161], -v[154:155]
	v_fma_f64 v[150:151], v[202:203], v[156:157], v[61:62]
	v_mul_f64 v[61:62], v[59:60], v[166:167]
	v_fma_f64 v[156:157], v[212:213], v[160:161], v[158:159]
	s_waitcnt vmcnt(14) lgkmcnt(1)
	v_mul_f64 v[158:159], v[50:51], v[170:171]
	v_mul_f64 v[160:161], v[71:72], v[170:171]
	v_fma_f64 v[162:163], v[59:60], v[164:165], -v[54:55]
	ds_read2_b64 v[54:57], v66 offset0:128 offset1:224
	s_waitcnt vmcnt(13) lgkmcnt(1)
	v_mul_f64 v[166:167], v[67:68], v[174:175]
	v_fma_f64 v[164:165], v[214:215], v[164:165], v[61:62]
	ds_read2_b64 v[58:61], v65 offset0:64 offset1:160
	v_mul_f64 v[62:63], v[75:76], v[174:175]
	v_fma_f64 v[71:72], v[71:72], v[168:169], -v[158:159]
	v_fma_f64 v[158:159], v[50:51], v[168:169], v[160:161]
	s_waitcnt vmcnt(11) lgkmcnt(1)
	v_mul_f64 v[50:51], v[54:55], v[182:183]
	s_waitcnt lgkmcnt(0)
	v_mul_f64 v[160:161], v[58:59], v[178:179]
	v_fma_f64 v[75:76], v[75:76], v[172:173], -v[166:167]
	s_waitcnt vmcnt(9)
	v_mul_f64 v[166:167], v[69:70], v[210:211]
	v_mul_f64 v[65:66], v[95:96], v[182:183]
	v_fma_f64 v[67:68], v[67:68], v[172:173], v[62:63]
	v_mul_f64 v[62:63], v[24:25], v[178:179]
	v_mul_f64 v[172:173], v[77:78], v[210:211]
	v_fma_f64 v[95:96], v[95:96], v[180:181], -v[50:51]
	v_mul_f64 v[50:51], v[52:53], v[206:207]
	v_fma_f64 v[24:25], v[24:25], v[176:177], -v[160:161]
	;; [unrolled: 2-line block ×3, first 2 shown]
	s_waitcnt vmcnt(7)
	v_mul_f64 v[166:167], v[97:98], v[222:223]
	ds_read_b64 v[168:169], v93
	ds_read_b64 v[170:171], v94
	v_mul_f64 v[174:175], v[56:57], v[222:223]
	v_fma_f64 v[69:70], v[69:70], v[208:209], v[172:173]
	v_fma_f64 v[73:74], v[73:74], v[204:205], -v[50:51]
	v_mul_f64 v[172:173], v[20:21], v[218:219]
	v_fma_f64 v[160:161], v[52:53], v[204:205], v[160:161]
	ds_read2_b64 v[50:53], v92 offset0:128 offset1:224
	v_fma_f64 v[56:57], v[56:57], v[220:221], v[166:167]
	v_fma_f64 v[54:55], v[54:55], v[180:181], v[65:66]
	;; [unrolled: 1-line block ×3, first 2 shown]
	s_waitcnt vmcnt(6)
	v_mul_f64 v[178:179], v[60:61], v[101:102]
	v_mul_f64 v[101:102], v[26:27], v[101:102]
	s_waitcnt vmcnt(5) lgkmcnt(0)
	v_mul_f64 v[166:167], v[50:51], v[105:106]
	v_mul_f64 v[105:106], v[8:9], v[105:106]
	ds_read2_b64 v[62:65], v64 offset0:64 offset1:160
	v_fma_f64 v[97:98], v[97:98], v[220:221], -v[174:175]
	v_add_f64 v[174:175], v[242:243], -v[6:7]
	v_add_f64 v[182:183], v[184:185], v[240:241]
	v_fma_f64 v[26:27], v[26:27], v[99:100], -v[178:179]
	s_waitcnt lgkmcnt(0)
	v_mul_f64 v[176:177], v[62:63], v[218:219]
	v_fma_f64 v[62:63], v[62:63], v[216:217], v[172:173]
	s_waitcnt vmcnt(3)
	v_mul_f64 v[172:173], v[200:201], v[230:231]
	v_fma_f64 v[60:61], v[60:61], v[99:100], v[101:102]
	v_mul_f64 v[101:102], v[188:189], v[226:227]
	v_fma_f64 v[8:9], v[8:9], v[103:104], -v[166:167]
	v_fma_f64 v[50:51], v[50:51], v[103:104], v[105:106]
	s_waitcnt vmcnt(1)
	v_mul_f64 v[105:106], v[64:65], v[234:235]
	v_mul_f64 v[166:167], v[22:23], v[234:235]
	;; [unrolled: 1-line block ×4, first 2 shown]
	v_fma_f64 v[16:17], v[16:17], v[228:229], -v[172:173]
	v_fma_f64 v[12:13], v[12:13], v[224:225], -v[101:102]
	v_mul_f64 v[101:102], v[196:197], v[109:110]
	v_mul_f64 v[109:110], v[4:5], v[109:110]
	v_fma_f64 v[22:23], v[22:23], v[232:233], -v[105:106]
	v_add_f64 v[105:106], v[238:239], v[244:245]
	v_fma_f64 v[64:65], v[64:65], v[232:233], v[166:167]
	v_add_f64 v[166:167], v[242:243], v[6:7]
	v_add_f64 v[172:173], v[190:191], v[115:116]
	v_fma_f64 v[20:21], v[20:21], v[216:217], -v[176:177]
	v_fma_f64 v[4:5], v[4:5], v[107:108], -v[101:102]
	v_fma_f64 v[101:102], v[196:197], v[107:108], v[109:110]
	s_waitcnt vmcnt(0)
	v_mul_f64 v[107:108], v[52:53], v[113:114]
	v_add_f64 v[109:110], v[0:1], v[238:239]
	v_fma_f64 v[0:1], v[105:106], -0.5, v[0:1]
	v_add_f64 v[105:106], v[240:241], -v[192:193]
	v_fma_f64 v[166:167], v[166:167], -0.5, v[236:237]
	v_fma_f64 v[172:173], v[172:173], -0.5, v[79:80]
	v_add_f64 v[176:177], v[190:191], -v[115:116]
	v_fma_f64 v[103:104], v[188:189], v[224:225], v[103:104]
	v_fma_f64 v[107:108], v[10:11], v[111:112], -v[107:108]
	v_mul_f64 v[10:11], v[10:11], v[113:114]
	v_add_f64 v[113:114], v[240:241], v[192:193]
	v_fma_f64 v[178:179], v[105:106], s[4:5], v[0:1]
	v_fma_f64 v[0:1], v[105:106], s[6:7], v[0:1]
	;; [unrolled: 1-line block ×6, first 2 shown]
	v_add_f64 v[176:177], v[236:237], v[242:243]
	v_fma_f64 v[113:114], v[113:114], -0.5, v[184:185]
	v_add_f64 v[79:80], v[79:80], v[190:191]
	v_add_f64 v[109:110], v[109:110], v[244:245]
	v_mul_f64 v[184:185], v[105:106], s[4:5]
	v_mul_f64 v[186:187], v[180:181], -0.5
	v_mul_f64 v[188:189], v[166:167], s[6:7]
	v_mul_f64 v[190:191], v[172:173], -0.5
	v_add_f64 v[174:175], v[238:239], -v[244:245]
	v_add_f64 v[6:7], v[176:177], v[6:7]
	v_add_f64 v[79:80], v[79:80], v[115:116]
	v_add_f64 v[182:183], v[182:183], v[192:193]
	v_fma_f64 v[166:167], v[166:167], 0.5, v[184:185]
	v_fma_f64 v[172:173], v[172:173], s[4:5], v[186:187]
	v_fma_f64 v[105:106], v[105:106], 0.5, v[188:189]
	v_fma_f64 v[115:116], v[180:181], s[6:7], v[190:191]
	v_add_f64 v[184:185], v[18:19], v[117:118]
	v_add_f64 v[188:189], v[154:155], v[71:72]
	;; [unrolled: 1-line block ×3, first 2 shown]
	v_fma_f64 v[192:193], v[174:175], s[6:7], v[113:114]
	v_fma_f64 v[113:114], v[174:175], s[4:5], v[113:114]
	;; [unrolled: 1-line block ×3, first 2 shown]
	v_add_f64 v[52:53], v[109:110], v[6:7]
	v_add_f64 v[111:112], v[178:179], v[166:167]
	v_add_f64 v[174:175], v[0:1], v[172:173]
	v_add_f64 v[6:7], v[109:110], -v[6:7]
	v_add_f64 v[109:110], v[178:179], -v[166:167]
	;; [unrolled: 1-line block ×3, first 2 shown]
	v_add_f64 v[166:167], v[36:37], v[18:19]
	v_fma_f64 v[36:37], v[184:185], -0.5, v[36:37]
	v_add_f64 v[172:173], v[150:151], -v[148:149]
	v_fma_f64 v[178:179], v[188:189], -0.5, v[2:3]
	v_fma_f64 v[184:185], v[190:191], -0.5, v[152:153]
	v_add_f64 v[188:189], v[154:155], -v[71:72]
	v_add_f64 v[190:191], v[156:157], -v[158:159]
	v_add_f64 v[176:177], v[182:183], v[79:80]
	v_add_f64 v[180:181], v[192:193], v[105:106]
	v_add_f64 v[79:80], v[182:183], -v[79:80]
	v_add_f64 v[105:106], v[192:193], -v[105:106]
	v_add_f64 v[182:183], v[150:151], v[148:149]
	v_fma_f64 v[192:193], v[172:173], s[4:5], v[36:37]
	v_fma_f64 v[36:37], v[172:173], s[6:7], v[36:37]
	;; [unrolled: 1-line block ×4, first 2 shown]
	v_add_f64 v[166:167], v[166:167], v[117:118]
	v_add_f64 v[150:151], v[168:169], v[150:151]
	v_fma_f64 v[178:179], v[190:191], s[4:5], v[178:179]
	v_fma_f64 v[168:169], v[182:183], -0.5, v[168:169]
	v_fma_f64 v[182:183], v[188:189], s[4:5], v[184:185]
	v_add_f64 v[18:19], v[18:19], -v[117:118]
	v_add_f64 v[2:3], v[2:3], v[154:155]
	v_mul_f64 v[117:118], v[172:173], s[4:5]
	v_mul_f64 v[154:155], v[194:195], -0.5
	v_add_f64 v[152:153], v[152:153], v[156:157]
	v_mul_f64 v[156:157], v[178:179], s[6:7]
	v_add_f64 v[188:189], v[162:163], v[73:74]
	v_add_f64 v[190:191], v[164:165], v[160:161]
	;; [unrolled: 1-line block ×4, first 2 shown]
	v_fma_f64 v[71:72], v[178:179], 0.5, v[117:118]
	v_fma_f64 v[117:118], v[182:183], s[4:5], v[154:155]
	v_add_f64 v[178:179], v[95:96], v[24:25]
	v_add_f64 v[148:149], v[150:151], v[148:149]
	v_mul_f64 v[150:151], v[182:183], -0.5
	v_fma_f64 v[184:185], v[18:19], s[6:7], v[168:169]
	v_add_f64 v[152:153], v[152:153], v[158:159]
	v_fma_f64 v[154:155], v[172:173], 0.5, v[156:157]
	v_add_f64 v[113:114], v[113:114], -v[115:116]
	v_add_f64 v[115:116], v[166:167], v[2:3]
	v_add_f64 v[156:157], v[192:193], v[71:72]
	;; [unrolled: 1-line block ×3, first 2 shown]
	v_add_f64 v[2:3], v[166:167], -v[2:3]
	v_add_f64 v[71:72], v[192:193], -v[71:72]
	;; [unrolled: 1-line block ×3, first 2 shown]
	v_add_f64 v[117:118], v[32:33], v[95:96]
	v_fma_f64 v[32:33], v[178:179], -0.5, v[32:33]
	v_add_f64 v[166:167], v[54:55], -v[58:59]
	v_fma_f64 v[178:179], v[188:189], -0.5, v[75:76]
	v_fma_f64 v[188:189], v[190:191], -0.5, v[67:68]
	v_add_f64 v[190:191], v[162:163], -v[73:74]
	v_add_f64 v[192:193], v[164:165], -v[160:161]
	v_fma_f64 v[18:19], v[18:19], s[4:5], v[168:169]
	v_fma_f64 v[150:151], v[194:195], s[6:7], v[150:151]
	v_add_f64 v[168:169], v[148:149], v[152:153]
	v_add_f64 v[172:173], v[184:185], v[154:155]
	v_add_f64 v[148:149], v[148:149], -v[152:153]
	v_add_f64 v[152:153], v[184:185], -v[154:155]
	v_add_f64 v[154:155], v[54:55], v[58:59]
	v_fma_f64 v[184:185], v[166:167], s[4:5], v[32:33]
	v_fma_f64 v[32:33], v[166:167], s[6:7], v[32:33]
	;; [unrolled: 1-line block ×4, first 2 shown]
	v_add_f64 v[117:118], v[117:118], v[24:25]
	v_add_f64 v[54:55], v[170:171], v[54:55]
	v_fma_f64 v[178:179], v[192:193], s[4:5], v[178:179]
	v_fma_f64 v[154:155], v[154:155], -0.5, v[170:171]
	v_fma_f64 v[170:171], v[190:191], s[4:5], v[188:189]
	v_add_f64 v[24:25], v[95:96], -v[24:25]
	v_add_f64 v[75:76], v[75:76], v[162:163]
	v_mul_f64 v[95:96], v[166:167], s[4:5]
	v_mul_f64 v[162:163], v[194:195], -0.5
	v_add_f64 v[66:67], v[67:68], v[164:165]
	v_mul_f64 v[164:165], v[178:179], s[6:7]
	v_add_f64 v[54:55], v[54:55], v[58:59]
	v_mul_f64 v[58:59], v[170:171], -0.5
	v_add_f64 v[190:191], v[20:21], v[8:9]
	v_add_f64 v[73:74], v[75:76], v[73:74]
	v_fma_f64 v[75:76], v[178:179], 0.5, v[95:96]
	v_fma_f64 v[95:96], v[170:171], s[4:5], v[162:163]
	v_add_f64 v[170:171], v[97:98], v[26:27]
	v_add_f64 v[192:193], v[62:63], v[50:51]
	;; [unrolled: 1-line block ×3, first 2 shown]
	v_fma_f64 v[188:189], v[24:25], s[6:7], v[154:155]
	v_add_f64 v[66:67], v[66:67], v[160:161]
	v_fma_f64 v[160:161], v[166:167], 0.5, v[164:165]
	v_fma_f64 v[24:25], v[24:25], s[4:5], v[154:155]
	v_add_f64 v[150:151], v[18:19], -v[150:151]
	v_add_f64 v[18:19], v[117:118], v[73:74]
	v_add_f64 v[154:155], v[184:185], v[75:76]
	;; [unrolled: 1-line block ×3, first 2 shown]
	v_add_f64 v[73:74], v[117:118], -v[73:74]
	v_add_f64 v[75:76], v[184:185], -v[75:76]
	;; [unrolled: 1-line block ×3, first 2 shown]
	v_add_f64 v[95:96], v[30:31], v[97:98]
	v_fma_f64 v[30:31], v[170:171], -0.5, v[30:31]
	v_add_f64 v[117:118], v[56:57], -v[60:61]
	v_fma_f64 v[170:171], v[190:191], -0.5, v[77:78]
	v_fma_f64 v[184:185], v[192:193], -0.5, v[69:70]
	v_add_f64 v[190:191], v[20:21], -v[8:9]
	v_add_f64 v[192:193], v[62:63], -v[50:51]
	v_fma_f64 v[58:59], v[194:195], s[6:7], v[58:59]
	v_add_f64 v[164:165], v[54:55], v[66:67]
	v_add_f64 v[166:167], v[188:189], v[160:161]
	v_add_f64 v[54:55], v[54:55], -v[66:67]
	v_add_f64 v[160:161], v[188:189], -v[160:161]
	v_add_f64 v[66:67], v[56:57], v[60:61]
	v_fma_f64 v[188:189], v[117:118], s[4:5], v[30:31]
	v_fma_f64 v[30:31], v[117:118], s[6:7], v[30:31]
	;; [unrolled: 1-line block ×4, first 2 shown]
	v_add_f64 v[95:96], v[95:96], v[26:27]
	v_add_f64 v[56:57], v[38:39], v[56:57]
	v_fma_f64 v[170:171], v[192:193], s[4:5], v[170:171]
	v_fma_f64 v[38:39], v[66:67], -0.5, v[38:39]
	v_fma_f64 v[66:67], v[190:191], s[4:5], v[184:185]
	v_add_f64 v[26:27], v[97:98], -v[26:27]
	v_add_f64 v[20:21], v[77:78], v[20:21]
	v_mul_f64 v[77:78], v[117:118], s[4:5]
	v_mul_f64 v[97:98], v[194:195], -0.5
	v_fma_f64 v[99:100], v[200:201], v[228:229], v[99:100]
	v_add_f64 v[62:63], v[69:70], v[62:63]
	v_mul_f64 v[68:69], v[170:171], s[6:7]
	v_add_f64 v[56:57], v[56:57], v[60:61]
	v_mul_f64 v[60:61], v[66:67], -0.5
	v_add_f64 v[8:9], v[20:21], v[8:9]
	v_fma_f64 v[20:21], v[170:171], 0.5, v[77:78]
	v_fma_f64 v[66:67], v[66:67], s[4:5], v[97:98]
	v_add_f64 v[97:98], v[12:13], v[4:5]
	v_add_f64 v[190:191], v[22:23], v[107:108]
	v_add_f64 v[192:193], v[64:65], v[10:11]
	v_add_f64 v[178:179], v[24:25], v[58:59]
	v_fma_f64 v[184:185], v[26:27], s[6:7], v[38:39]
	v_add_f64 v[50:51], v[62:63], v[50:51]
	v_fma_f64 v[62:63], v[117:118], 0.5, v[68:69]
	v_fma_f64 v[26:27], v[26:27], s[4:5], v[38:39]
	v_fma_f64 v[38:39], v[194:195], s[6:7], v[60:61]
	v_add_f64 v[58:59], v[24:25], -v[58:59]
	v_add_f64 v[24:25], v[95:96], v[8:9]
	v_add_f64 v[60:61], v[188:189], v[20:21]
	;; [unrolled: 1-line block ×3, first 2 shown]
	v_add_f64 v[8:9], v[95:96], -v[8:9]
	v_add_f64 v[20:21], v[188:189], -v[20:21]
	;; [unrolled: 1-line block ×3, first 2 shown]
	v_add_f64 v[66:67], v[28:29], v[12:13]
	v_fma_f64 v[28:29], v[97:98], -0.5, v[28:29]
	v_add_f64 v[95:96], v[103:104], -v[101:102]
	v_fma_f64 v[97:98], v[190:191], -0.5, v[16:17]
	v_fma_f64 v[188:189], v[192:193], -0.5, v[99:100]
	v_add_f64 v[190:191], v[22:23], -v[107:108]
	v_add_f64 v[192:193], v[64:65], -v[10:11]
	v_add_f64 v[77:78], v[56:57], v[50:51]
	v_add_f64 v[194:195], v[103:104], v[101:102]
	v_add_f64 v[196:197], v[56:57], -v[50:51]
	v_add_f64 v[50:51], v[66:67], v[4:5]
	v_fma_f64 v[56:57], v[95:96], s[4:5], v[28:29]
	v_add_f64 v[66:67], v[34:35], v[103:104]
	v_fma_f64 v[28:29], v[95:96], s[6:7], v[28:29]
	v_fma_f64 v[95:96], v[190:191], s[6:7], v[188:189]
	;; [unrolled: 1-line block ×4, first 2 shown]
	v_fma_f64 v[34:35], v[194:195], -0.5, v[34:35]
	v_add_f64 v[4:5], v[12:13], -v[4:5]
	v_fma_f64 v[97:98], v[192:193], s[4:5], v[97:98]
	v_add_f64 v[12:13], v[66:67], v[101:102]
	v_add_f64 v[16:17], v[16:17], v[22:23]
	v_mul_f64 v[22:23], v[95:96], s[4:5]
	v_mul_f64 v[66:67], v[103:104], -0.5
	v_mul_f64 v[101:102], v[188:189], -0.5
	v_add_f64 v[64:65], v[99:100], v[64:65]
	v_fma_f64 v[190:191], v[4:5], s[6:7], v[34:35]
	v_fma_f64 v[4:5], v[4:5], s[4:5], v[34:35]
	v_mul_f64 v[99:100], v[97:98], s[6:7]
	v_add_f64 v[16:17], v[16:17], v[107:108]
	v_fma_f64 v[22:23], v[97:98], 0.5, v[22:23]
	v_fma_f64 v[34:35], v[188:189], s[4:5], v[66:67]
	v_fma_f64 v[66:67], v[103:104], s[6:7], v[101:102]
	v_add_f64 v[117:118], v[184:185], v[62:63]
	v_add_f64 v[101:102], v[184:185], -v[62:63]
	v_add_f64 v[170:171], v[26:27], v[38:39]
	v_add_f64 v[38:39], v[26:27], -v[38:39]
	v_add_f64 v[26:27], v[50:51], v[16:17]
	v_add_f64 v[62:63], v[56:57], v[22:23]
	;; [unrolled: 1-line block ×4, first 2 shown]
	v_add_f64 v[192:193], v[4:5], -v[66:67]
	v_mov_b32_e32 v4, 0xb40
	v_cndmask_b32_e64 v4, 0, v4, s[0:1]
	v_lshlrev_b32_e32 v5, 3, v42
	v_add3_u32 v81, 0, v4, v5
	v_fma_f64 v[64:65], v[95:96], 0.5, v[99:100]
	v_add_f64 v[95:96], v[28:29], v[34:35]
	v_add_f64 v[16:17], v[50:51], -v[16:17]
	v_add_f64 v[22:23], v[56:57], -v[22:23]
	;; [unrolled: 1-line block ×3, first 2 shown]
	s_barrier
	ds_write2_b64 v81, v[52:53], v[111:112] offset1:60
	ds_write2_b64 v81, v[174:175], v[6:7] offset0:120 offset1:180
	v_add_u32_e32 v53, 0x400, v81
	ds_write2_b64 v53, v[109:110], v[0:1] offset0:112 offset1:172
	v_mul_u32_u24_e32 v0, 0xb40, v43
	v_lshlrev_b32_sdwa v1, v41, v45 dst_sel:DWORD dst_unused:UNUSED_PAD src0_sel:DWORD src1_sel:BYTE_0
	v_add3_u32 v0, 0, v0, v1
	ds_write2_b64 v0, v[115:116], v[156:157] offset1:60
	ds_write2_b64 v0, v[158:159], v[2:3] offset0:120 offset1:180
	v_mul_u32_u24_e32 v2, 0xb40, v46
	v_lshlrev_b32_e32 v3, 3, v47
	v_add_u32_e32 v1, 0x400, v0
	v_add3_u32 v43, 0, v2, v3
	v_mul_u32_u24_e32 v2, 0xb40, v48
	v_lshlrev_b32_e32 v3, 3, v49
	ds_write2_b64 v1, v[71:72], v[36:37] offset0:112 offset1:172
	ds_write2_b64 v43, v[18:19], v[154:155] offset1:60
	ds_write2_b64 v43, v[162:163], v[73:74] offset0:120 offset1:180
	v_add_u32_e32 v72, 0x400, v43
	v_add3_u32 v73, 0, v2, v3
	v_mul_u32_u24_e32 v2, 0xb40, v14
	v_lshlrev_b32_e32 v3, 3, v15
	ds_write2_b64 v72, v[75:76], v[32:33] offset0:112 offset1:172
	v_add_u32_e32 v74, 0x400, v73
	v_add3_u32 v75, 0, v2, v3
	ds_write2_b64 v73, v[24:25], v[60:61] offset1:60
	ds_write2_b64 v73, v[68:69], v[8:9] offset0:120 offset1:180
	ds_write2_b64 v74, v[20:21], v[30:31] offset0:112 offset1:172
	ds_write2_b64 v75, v[26:27], v[62:63] offset1:60
	ds_write2_b64 v75, v[95:96], v[16:17] offset0:120 offset1:180
	v_add_u32_e32 v76, 0x400, v75
	v_add_u32_e32 v95, 0x2c00, v89
	v_add_u32_e32 v56, 0x3c00, v89
	v_lshl_add_u32 v57, v131, 3, 0
	v_add_u32_e32 v52, 0x4400, v89
	v_lshl_add_u32 v99, v134, 3, 0
	v_add_f64 v[103:104], v[12:13], v[10:11]
	v_add_f64 v[107:108], v[190:191], v[64:65]
	v_add_f64 v[188:189], v[12:13], -v[10:11]
	v_add_f64 v[190:191], v[190:191], -v[64:65]
	ds_write2_b64 v76, v[22:23], v[28:29] offset0:112 offset1:172
	s_waitcnt lgkmcnt(0)
	s_barrier
	ds_read_b64 v[24:25], v89
	ds_read2_b64 v[26:29], v95 offset0:32 offset1:128
	ds_read2_b64 v[30:33], v84 offset0:96 offset1:192
	;; [unrolled: 1-line block ×3, first 2 shown]
	v_lshl_add_u32 v96, v139, 3, 0
	ds_read2_b64 v[48:51], v56 offset0:96 offset1:192
	v_lshl_add_u32 v97, v126, 3, 0
	ds_read_b64 v[22:23], v85
	ds_read_b64 v[20:21], v87
	;; [unrolled: 1-line block ×4, first 2 shown]
	ds_read2_b64 v[60:63], v52 offset0:32 offset1:128
	v_lshl_add_u32 v45, v124, 3, 0
	ds_read2_b64 v[64:67], v88 offset0:96 offset1:192
	v_lshl_add_u32 v46, v138, 3, 0
	v_lshl_add_u32 v47, v129, 3, 0
	ds_read_b64 v[14:15], v57
	ds_read_b64 v[12:13], v45
	;; [unrolled: 1-line block ×4, first 2 shown]
	ds_read2_b64 v[68:71], v92 offset0:32 offset1:128
	ds_read_b64 v[6:7], v99
	v_lshl_add_u32 v100, v143, 3, 0
	ds_read_b64 v[41:42], v94
	ds_read_b64 v[208:209], v93
	;; [unrolled: 1-line block ×5, first 2 shown]
	ds_read_b64 v[212:213], v89 offset:22272
	s_waitcnt lgkmcnt(0)
	s_barrier
	ds_write2_b64 v81, v[176:177], v[180:181] offset1:60
	ds_write2_b64 v81, v[186:187], v[79:80] offset0:120 offset1:180
	ds_write2_b64 v53, v[105:106], v[113:114] offset0:112 offset1:172
	ds_write2_b64 v0, v[168:169], v[172:173] offset1:60
	ds_write2_b64 v0, v[182:183], v[148:149] offset0:120 offset1:180
	ds_write2_b64 v1, v[152:153], v[150:151] offset0:112 offset1:172
	;; [unrolled: 3-line block ×5, first 2 shown]
	v_lshlrev_b64 v[0:1], 4, v[120:121]
	s_movk_i32 s4, 0x1000
	v_add_co_u32_e64 v53, s[0:1], s8, v0
	v_addc_co_u32_e64 v54, s[0:1], v40, v1, s[0:1]
	v_add_co_u32_e64 v0, s[0:1], s4, v53
	v_lshlrev_b64 v[38:39], 4, v[132:133]
	v_addc_co_u32_e64 v1, s[0:1], 0, v54, s[0:1]
	v_add_co_u32_e64 v55, s[0:1], s8, v38
	v_addc_co_u32_e64 v58, s[0:1], v40, v39, s[0:1]
	v_add_co_u32_e64 v38, s[0:1], s4, v55
	v_lshlrev_b64 v[72:73], 4, v[136:137]
	v_addc_co_u32_e64 v39, s[0:1], 0, v58, s[0:1]
	v_add_co_u32_e64 v59, s[0:1], s8, v72
	v_addc_co_u32_e64 v98, s[0:1], v40, v73, s[0:1]
	v_add_co_u32_e64 v72, s[0:1], s4, v59
	v_addc_co_u32_e64 v73, s[0:1], 0, v98, s[0:1]
	s_movk_i32 s0, 0x48
	v_add_u32_e32 v43, 0xffffffb8, v120
	v_cmp_gt_u32_e64 s[0:1], s0, v120
	v_cndmask_b32_e64 v43, v43, v141, s[0:1]
	v_lshlrev_b64 v[74:75], 4, v[43:44]
	s_movk_i32 s5, 0x2d83
	v_add_co_u32_e64 v74, s[0:1], s8, v74
	v_addc_co_u32_e64 v75, s[0:1], v40, v75, s[0:1]
	v_add_co_u32_e64 v76, s[0:1], s4, v74
	v_addc_co_u32_e64 v77, s[0:1], 0, v75, s[0:1]
	s_waitcnt lgkmcnt(0)
	s_barrier
	global_load_dwordx4 v[72:75], v[72:73], off offset:1504
	s_nop 0
	global_load_dwordx4 v[76:79], v[76:77], off offset:1504
	s_nop 0
	global_load_dwordx4 v[101:104], v[0:1], off offset:1504
	global_load_dwordx4 v[105:108], v[0:1], off offset:1888
	;; [unrolled: 1-line block ×4, first 2 shown]
	v_mul_u32_u24_sdwa v38, v126, s5 dst_sel:DWORD dst_unused:UNUSED_PAD src0_sel:WORD_0 src1_sel:DWORD
	v_lshrrev_b32_e32 v119, 22, v38
	v_mul_lo_u16_e32 v38, 0x168, v119
	v_add_co_u32_e64 v0, s[0:1], s14, v53
	v_sub_u16_e32 v125, v126, v38
	v_addc_co_u32_e64 v1, s[0:1], 0, v54, s[0:1]
	v_lshlrev_b32_e32 v38, 4, v125
	v_add_co_u32_e64 v38, s[0:1], s8, v38
	v_addc_co_u32_e64 v39, s[0:1], 0, v40, s[0:1]
	v_add_co_u32_e64 v38, s[0:1], s4, v38
	v_addc_co_u32_e64 v39, s[0:1], 0, v39, s[0:1]
	global_load_dwordx4 v[148:151], v[0:1], off offset:864
	global_load_dwordx4 v[152:155], v[38:39], off offset:1504
	v_mul_u32_u24_sdwa v38, v131, s5 dst_sel:DWORD dst_unused:UNUSED_PAD src0_sel:WORD_0 src1_sel:DWORD
	v_lshrrev_b32_e32 v38, 22, v38
	v_mul_lo_u16_e32 v38, 0x168, v38
	v_sub_u16_e32 v127, v131, v38
	v_lshlrev_b32_e32 v38, 4, v127
	v_mul_u32_u24_sdwa v80, v124, s5 dst_sel:DWORD dst_unused:UNUSED_PAD src0_sel:WORD_0 src1_sel:DWORD
	v_add_co_u32_e64 v38, s[0:1], s8, v38
	v_lshrrev_b32_e32 v80, 22, v80
	v_addc_co_u32_e64 v39, s[0:1], 0, v40, s[0:1]
	v_mul_lo_u16_e32 v80, 0x168, v80
	v_add_co_u32_e64 v38, s[0:1], s4, v38
	v_sub_u16_e32 v130, v124, v80
	v_addc_co_u32_e64 v39, s[0:1], 0, v39, s[0:1]
	v_lshlrev_b32_e32 v80, 4, v130
	v_add_co_u32_e64 v80, s[0:1], s8, v80
	v_addc_co_u32_e64 v81, s[0:1], 0, v40, s[0:1]
	v_add_co_u32_e64 v80, s[0:1], s4, v80
	v_addc_co_u32_e64 v81, s[0:1], 0, v81, s[0:1]
	global_load_dwordx4 v[156:159], v[38:39], off offset:1504
	global_load_dwordx4 v[160:163], v[80:81], off offset:1504
	v_mul_u32_u24_sdwa v38, v128, s5 dst_sel:DWORD dst_unused:UNUSED_PAD src0_sel:WORD_0 src1_sel:DWORD
	v_lshrrev_b32_e32 v38, 22, v38
	v_mul_lo_u16_e32 v38, 0x168, v38
	v_sub_u16_e32 v133, v128, v38
	v_lshlrev_b32_e32 v38, 4, v133
	v_mul_u32_u24_sdwa v80, v138, s5 dst_sel:DWORD dst_unused:UNUSED_PAD src0_sel:WORD_0 src1_sel:DWORD
	v_add_co_u32_e64 v38, s[0:1], s8, v38
	v_lshrrev_b32_e32 v135, 22, v80
	v_addc_co_u32_e64 v39, s[0:1], 0, v40, s[0:1]
	;; [unrolled: 20-line block ×3, first 2 shown]
	v_mul_lo_u16_e32 v80, 0x168, v80
	v_add_co_u32_e64 v38, s[0:1], s4, v38
	v_sub_u16_e32 v233, v134, v80
	v_addc_co_u32_e64 v39, s[0:1], 0, v39, s[0:1]
	v_lshlrev_b32_e32 v80, 4, v233
	v_add_co_u32_e64 v80, s[0:1], s8, v80
	v_addc_co_u32_e64 v81, s[0:1], 0, v40, s[0:1]
	v_add_co_u32_e64 v80, s[0:1], s4, v80
	v_addc_co_u32_e64 v81, s[0:1], 0, v81, s[0:1]
	global_load_dwordx4 v[172:175], v[38:39], off offset:1504
	global_load_dwordx4 v[176:179], v[80:81], off offset:1504
	v_mul_u32_u24_sdwa v38, v143, s5 dst_sel:DWORD dst_unused:UNUSED_PAD src0_sel:WORD_0 src1_sel:DWORD
	v_lshrrev_b32_e32 v38, 22, v38
	v_mul_lo_u16_e32 v38, 0x168, v38
	v_sub_u16_e32 v234, v143, v38
	v_lshlrev_b32_e32 v38, 4, v234
	v_add_co_u32_e64 v38, s[0:1], s8, v38
	v_addc_co_u32_e64 v39, s[0:1], 0, v40, s[0:1]
	v_add_co_u32_e64 v38, s[0:1], s4, v38
	v_addc_co_u32_e64 v39, s[0:1], 0, v39, s[0:1]
	global_load_dwordx4 v[180:183], v[38:39], off offset:1504
	ds_read2_b64 v[184:187], v95 offset0:32 offset1:128
	ds_read_b64 v[38:39], v89
	ds_read2_b64 v[188:191], v84 offset0:96 offset1:192
	ds_read2_b64 v[192:195], v86 offset0:32 offset1:128
	;; [unrolled: 1-line block ×3, first 2 shown]
	s_waitcnt vmcnt(12) lgkmcnt(4)
	v_mul_f64 v[80:81], v[184:185], v[103:104]
	v_mul_f64 v[103:104], v[26:27], v[103:104]
	s_waitcnt lgkmcnt(2)
	v_mul_f64 v[226:227], v[190:191], v[78:79]
	ds_read_b64 v[117:118], v85
	ds_read_b64 v[214:215], v87
	;; [unrolled: 1-line block ×4, first 2 shown]
	ds_read2_b64 v[200:203], v52 offset0:32 offset1:128
	ds_read2_b64 v[204:207], v88 offset0:96 offset1:192
	s_movk_i32 s0, 0x47
	v_cmp_lt_u32_e64 s[0:1], s0, v120
	v_fma_f64 v[80:81], v[26:27], v[101:102], -v[80:81]
	v_fma_f64 v[101:102], v[184:185], v[101:102], v[103:104]
	s_waitcnt vmcnt(10)
	v_mul_f64 v[26:27], v[186:187], v[111:112]
	v_mul_f64 v[103:104], v[28:29], v[111:112]
	;; [unrolled: 1-line block ×4, first 2 shown]
	ds_read_b64 v[184:185], v57
	ds_read_b64 v[220:221], v45
	;; [unrolled: 1-line block ×4, first 2 shown]
	v_add_f64 v[80:81], v[24:25], -v[80:81]
	v_add_f64 v[101:102], v[38:39], -v[101:102]
	v_fma_f64 v[228:229], v[28:29], v[109:110], -v[26:27]
	ds_read2_b64 v[26:29], v92 offset0:32 offset1:128
	v_fma_f64 v[30:31], v[30:31], v[72:73], -v[111:112]
	v_fma_f64 v[72:73], v[188:189], v[72:73], v[74:75]
	v_mul_f64 v[74:75], v[32:33], v[78:79]
	s_waitcnt lgkmcnt(12)
	v_mul_f64 v[78:79], v[192:193], v[107:108]
	v_mul_f64 v[107:108], v[34:35], v[107:108]
	s_waitcnt vmcnt(9)
	v_mul_f64 v[111:112], v[194:195], v[115:116]
	v_mul_f64 v[115:116], v[36:37], v[115:116]
	v_fma_f64 v[103:104], v[186:187], v[109:110], v[103:104]
	ds_read_b64 v[109:110], v99
	v_fma_f64 v[32:33], v[32:33], v[76:77], -v[226:227]
	ds_read_b64 v[186:187], v94
	ds_read_b64 v[188:189], v93
	ds_read_b64 v[226:227], v100
	v_fma_f64 v[34:35], v[34:35], v[105:106], -v[78:79]
	v_fma_f64 v[78:79], v[192:193], v[105:106], v[107:108]
	v_fma_f64 v[36:37], v[36:37], v[113:114], -v[111:112]
	v_fma_f64 v[105:106], v[194:195], v[113:114], v[115:116]
	s_waitcnt vmcnt(8) lgkmcnt(14)
	v_mul_f64 v[107:108], v[196:197], v[150:151]
	v_mul_f64 v[111:112], v[48:49], v[150:151]
	s_waitcnt vmcnt(7)
	v_mul_f64 v[113:114], v[198:199], v[154:155]
	v_mul_f64 v[115:116], v[50:51], v[154:155]
	s_waitcnt vmcnt(6) lgkmcnt(10)
	v_mul_f64 v[150:151], v[200:201], v[158:159]
	v_mul_f64 v[154:155], v[60:61], v[158:159]
	s_waitcnt vmcnt(5)
	v_mul_f64 v[158:159], v[202:203], v[162:163]
	v_mul_f64 v[162:163], v[62:63], v[162:163]
	v_fma_f64 v[48:49], v[48:49], v[148:149], -v[107:108]
	v_fma_f64 v[107:108], v[196:197], v[148:149], v[111:112]
	v_fma_f64 v[50:51], v[50:51], v[152:153], -v[113:114]
	v_fma_f64 v[111:112], v[198:199], v[152:153], v[115:116]
	s_waitcnt vmcnt(3) lgkmcnt(9)
	v_mul_f64 v[152:153], v[206:207], v[170:171]
	v_fma_f64 v[74:75], v[190:191], v[76:77], v[74:75]
	ds_read_b64 v[76:77], v91
	ds_read_b64 v[190:191], v90
	ds_read_b64 v[230:231], v89 offset:22272
	v_mul_f64 v[148:149], v[204:205], v[166:167]
	v_fma_f64 v[60:61], v[60:61], v[156:157], -v[150:151]
	v_fma_f64 v[113:114], v[200:201], v[156:157], v[154:155]
	v_fma_f64 v[62:63], v[62:63], v[160:161], -v[158:159]
	v_fma_f64 v[115:116], v[202:203], v[160:161], v[162:163]
	v_mul_f64 v[150:151], v[64:65], v[166:167]
	v_mul_f64 v[154:155], v[66:67], v[170:171]
	v_fma_f64 v[66:67], v[66:67], v[168:169], -v[152:153]
	v_fma_f64 v[64:65], v[64:65], v[164:165], -v[148:149]
	v_add_f64 v[32:33], v[22:23], -v[32:33]
	v_add_f64 v[48:49], v[16:17], -v[48:49]
	;; [unrolled: 1-line block ×4, first 2 shown]
	s_waitcnt vmcnt(2) lgkmcnt(7)
	v_mul_f64 v[156:157], v[26:27], v[174:175]
	v_mul_f64 v[158:159], v[68:69], v[174:175]
	s_waitcnt vmcnt(1)
	v_mul_f64 v[160:161], v[28:29], v[178:179]
	v_mul_f64 v[162:163], v[70:71], v[178:179]
	v_fma_f64 v[148:149], v[204:205], v[164:165], v[150:151]
	v_fma_f64 v[150:151], v[206:207], v[168:169], v[154:155]
	v_add_f64 v[50:51], v[10:11], -v[50:51]
	v_add_f64 v[30:31], v[41:42], -v[30:31]
	v_fma_f64 v[68:69], v[68:69], v[172:173], -v[156:157]
	v_fma_f64 v[26:27], v[26:27], v[172:173], v[158:159]
	v_fma_f64 v[70:71], v[70:71], v[176:177], -v[160:161]
	v_fma_f64 v[28:29], v[28:29], v[176:177], v[162:163]
	v_add_f64 v[156:157], v[208:209], -v[228:229]
	v_add_f64 v[60:61], v[14:15], -v[60:61]
	;; [unrolled: 1-line block ×3, first 2 shown]
	s_waitcnt vmcnt(0) lgkmcnt(0)
	v_mul_f64 v[152:153], v[230:231], v[182:183]
	v_mul_f64 v[154:155], v[212:213], v[182:183]
	v_add_f64 v[64:65], v[18:19], -v[64:65]
	v_add_f64 v[66:67], v[4:5], -v[66:67]
	;; [unrolled: 1-line block ×4, first 2 shown]
	v_fma_f64 v[24:25], v[24:25], 2.0, -v[80:81]
	v_fma_f64 v[22:23], v[22:23], 2.0, -v[32:33]
	v_fma_f64 v[152:153], v[212:213], v[180:181], -v[152:153]
	v_fma_f64 v[154:155], v[230:231], v[180:181], v[154:155]
	v_add_f64 v[180:181], v[224:225], -v[26:27]
	v_add_f64 v[26:27], v[6:7], -v[70:71]
	;; [unrolled: 1-line block ×3, first 2 shown]
	v_fma_f64 v[16:17], v[16:17], 2.0, -v[48:49]
	v_add_f64 v[72:73], v[186:187], -v[72:73]
	v_fma_f64 v[158:159], v[38:39], 2.0, -v[101:102]
	v_add_f64 v[28:29], v[8:9], -v[152:153]
	v_fma_f64 v[38:39], v[208:209], 2.0, -v[156:157]
	v_fma_f64 v[20:21], v[20:21], 2.0, -v[34:35]
	;; [unrolled: 1-line block ×5, first 2 shown]
	v_add_f64 v[74:75], v[117:118], -v[74:75]
	v_fma_f64 v[14:15], v[14:15], 2.0, -v[60:61]
	v_fma_f64 v[176:177], v[12:13], 2.0, -v[62:63]
	;; [unrolled: 1-line block ×3, first 2 shown]
	v_mov_b32_e32 v12, 0x1680
	v_add_f64 v[78:79], v[214:215], -v[78:79]
	v_add_f64 v[105:106], v[190:191], -v[105:106]
	;; [unrolled: 1-line block ×9, first 2 shown]
	v_fma_f64 v[4:5], v[4:5], 2.0, -v[66:67]
	v_fma_f64 v[2:3], v[2:3], 2.0, -v[68:69]
	;; [unrolled: 1-line block ×4, first 2 shown]
	v_cndmask_b32_e64 v12, 0, v12, s[0:1]
	v_lshlrev_b32_e32 v13, 3, v43
	v_add3_u32 v43, 0, v12, v13
	v_lshl_add_u32 v12, v120, 3, 0
	v_fma_f64 v[160:161], v[188:189], 2.0, -v[103:104]
	s_barrier
	ds_write_b64 v89, v[24:25]
	ds_write_b64 v89, v[80:81] offset:2880
	ds_write_b64 v93, v[38:39]
	ds_write_b64 v93, v[156:157] offset:2880
	;; [unrolled: 2-line block ×3, first 2 shown]
	v_add_u32_e32 v157, 0x1c00, v12
	ds_write_b64 v43, v[22:23]
	ds_write_b64 v43, v[32:33] offset:2880
	ds_write2_b64 v157, v[16:17], v[34:35] offset0:40 offset1:208
	v_mul_u32_u24_e32 v13, 0x1680, v119
	v_lshlrev_b32_e32 v16, 3, v125
	v_fma_f64 v[162:163], v[186:187], 2.0, -v[72:73]
	v_add_u32_e32 v156, 0x1400, v12
	v_add_u32_e32 v17, 0x2400, v12
	v_add3_u32 v119, 0, v13, v16
	ds_write2_b64 v156, v[20:21], v[166:167] offset0:104 offset1:200
	ds_write2_b64 v17, v[36:37], v[48:49] offset0:48 offset1:144
	ds_write_b64 v119, v[10:11]
	ds_write_b64 v119, v[50:51] offset:2880
	v_lshl_add_u32 v10, v127, 3, 0
	v_fma_f64 v[117:118], v[117:118], 2.0, -v[74:75]
	ds_write_b64 v10, v[14:15] offset:11520
	ds_write_b64 v10, v[60:61] offset:14400
	v_lshl_add_u32 v11, v130, 3, 0
	v_lshl_add_u32 v60, v133, 3, 0
	v_mul_u32_u24_e32 v13, 0x1680, v135
	v_lshlrev_b32_e32 v14, 3, v137
	ds_write_b64 v11, v[176:177] offset:11520
	ds_write_b64 v11, v[62:63] offset:14400
	;; [unrolled: 1-line block ×4, first 2 shown]
	v_add3_u32 v18, 0, v13, v14
	v_lshl_add_u32 v19, v232, 3, 0
	v_lshl_add_u32 v61, v233, 3, 0
	;; [unrolled: 1-line block ×3, first 2 shown]
	v_fma_f64 v[164:165], v[214:215], 2.0, -v[78:79]
	v_fma_f64 v[168:169], v[190:191], 2.0, -v[105:106]
	;; [unrolled: 1-line block ×11, first 2 shown]
	ds_write_b64 v18, v[4:5]
	ds_write_b64 v18, v[66:67] offset:2880
	ds_write_b64 v19, v[2:3] offset:17280
	;; [unrolled: 1-line block ×7, first 2 shown]
	s_waitcnt lgkmcnt(0)
	s_barrier
	ds_read_b64 v[41:42], v89
	ds_read2_b64 v[13:16], v95 offset0:32 offset1:128
	ds_read2_b64 v[20:23], v84 offset0:96 offset1:192
	;; [unrolled: 1-line block ×4, first 2 shown]
	ds_read_b64 v[80:81], v85
	ds_read_b64 v[196:197], v87
	;; [unrolled: 1-line block ×4, first 2 shown]
	ds_read2_b64 v[32:35], v52 offset0:32 offset1:128
	ds_read2_b64 v[36:39], v88 offset0:96 offset1:192
	ds_read_b64 v[202:203], v57
	ds_read_b64 v[204:205], v45
	;; [unrolled: 1-line block ×4, first 2 shown]
	ds_read2_b64 v[48:51], v92 offset0:32 offset1:128
	ds_read_b64 v[4:5], v99
	ds_read_b64 v[206:207], v94
	;; [unrolled: 1-line block ×6, first 2 shown]
	ds_read_b64 v[214:215], v89 offset:22272
	s_waitcnt lgkmcnt(0)
	s_barrier
	ds_write_b64 v89, v[158:159]
	ds_write_b64 v89, v[101:102] offset:2880
	ds_write_b64 v93, v[160:161]
	ds_write_b64 v93, v[103:104] offset:2880
	;; [unrolled: 2-line block ×4, first 2 shown]
	ds_write2_b64 v156, v[164:165], v[168:169] offset0:104 offset1:200
	ds_write2_b64 v157, v[170:171], v[78:79] offset0:40 offset1:208
	;; [unrolled: 1-line block ×3, first 2 shown]
	ds_write_b64 v119, v[172:173]
	ds_write_b64 v119, v[111:112] offset:2880
	ds_write_b64 v10, v[174:175] offset:11520
	ds_write_b64 v10, v[113:114] offset:14400
	ds_write_b64 v11, v[178:179] offset:11520
	ds_write_b64 v11, v[115:116] offset:14400
	ds_write_b64 v60, v[76:77] offset:11520
	ds_write_b64 v60, v[148:149] offset:14400
	ds_write_b64 v18, v[154:155]
	ds_write_b64 v18, v[150:151] offset:2880
	ds_write_b64 v19, v[182:183] offset:17280
	;; [unrolled: 1-line block ×7, first 2 shown]
	v_add_co_u32_e64 v10, s[0:1], s14, v55
	v_addc_co_u32_e64 v11, s[0:1], 0, v58, s[0:1]
	v_add_co_u32_e64 v17, s[0:1], s14, v59
	s_waitcnt lgkmcnt(0)
	s_barrier
	global_load_dwordx4 v[60:63], v[0:1], off offset:3168
	v_addc_co_u32_e64 v18, s[0:1], 0, v98, s[0:1]
	global_load_dwordx4 v[64:67], v[10:11], off offset:3168
	global_load_dwordx4 v[68:71], v[17:18], off offset:3168
	v_lshlrev_b64 v[10:11], 4, v[141:142]
	v_lshlrev_b64 v[18:19], 4, v[144:145]
	v_add_co_u32_e64 v101, s[0:1], s8, v10
	v_addc_co_u32_e64 v102, s[0:1], v40, v11, s[0:1]
	v_add_co_u32_e64 v10, s[0:1], s14, v101
	v_addc_co_u32_e64 v11, s[0:1], 0, v102, s[0:1]
	;; [unrolled: 2-line block ×4, first 2 shown]
	global_load_dwordx4 v[72:75], v[10:11], off offset:3168
	s_nop 0
	global_load_dwordx4 v[76:79], v[76:77], off offset:3168
	v_lshlrev_b64 v[10:11], 4, v[146:147]
	v_subrev_u32_e32 v17, 48, v120
	v_add_co_u32_e64 v103, s[0:1], s8, v10
	v_addc_co_u32_e64 v104, s[0:1], v40, v11, s[0:1]
	v_add_co_u32_e64 v105, s[0:1], s14, v103
	v_lshlrev_b64 v[10:11], 4, v[139:140]
	v_addc_co_u32_e64 v106, s[0:1], 0, v104, s[0:1]
	v_add_co_u32_e64 v10, s[0:1], s8, v10
	v_addc_co_u32_e64 v11, s[0:1], v40, v11, s[0:1]
	v_add_co_u32_e64 v109, s[0:1], s14, v10
	v_addc_co_u32_e64 v110, s[0:1], 0, v11, s[0:1]
	v_cmp_gt_u32_e64 s[0:1], 48, v120
	v_cndmask_b32_e64 v43, v17, v126, s[0:1]
	v_lshlrev_b64 v[113:114], 4, v[43:44]
	global_load_dwordx4 v[105:108], v[105:106], off offset:3168
	s_nop 0
	global_load_dwordx4 v[109:112], v[109:110], off offset:3168
	v_add_co_u32_e64 v17, s[0:1], s8, v113
	v_addc_co_u32_e64 v113, s[0:1], v40, v114, s[0:1]
	v_add_co_u32_e64 v117, s[0:1], s14, v17
	v_addc_co_u32_e64 v118, s[0:1], 0, v113, s[0:1]
	global_load_dwordx4 v[113:116], v[0:1], off offset:3936
	v_add_co_u32_e64 v0, s[0:1], s11, v53
	v_addc_co_u32_e64 v1, s[0:1], 0, v54, s[0:1]
	global_load_dwordx4 v[139:142], v[117:118], off offset:3168
	global_load_dwordx4 v[144:147], v[0:1], off offset:1376
	v_add_u32_e32 v117, 0x150, v120
	v_mov_b32_e32 v118, v44
	v_lshlrev_b64 v[117:118], 4, v[117:118]
	v_add_u32_e32 v130, 0x3000, v12
	v_add_co_u32_e64 v17, s[0:1], s8, v117
	v_addc_co_u32_e64 v118, s[0:1], v40, v118, s[0:1]
	v_add_co_u32_e64 v117, s[0:1], s14, v17
	v_addc_co_u32_e64 v118, s[0:1], 0, v118, s[0:1]
	global_load_dwordx4 v[148:151], v[0:1], off offset:2912
	global_load_dwordx4 v[152:155], v[117:118], off offset:3168
	v_add_u32_e32 v0, 0x1b0, v120
	v_mov_b32_e32 v1, v44
	v_lshlrev_b64 v[0:1], 4, v[0:1]
	v_add_u32_e32 v117, 0x210, v120
	v_add_co_u32_e64 v0, s[0:1], s8, v0
	v_addc_co_u32_e64 v1, s[0:1], v40, v1, s[0:1]
	v_mov_b32_e32 v118, v44
	v_add_co_u32_e64 v0, s[0:1], s14, v0
	v_lshlrev_b64 v[117:118], 4, v[117:118]
	v_addc_co_u32_e64 v1, s[0:1], 0, v1, s[0:1]
	v_add_co_u32_e64 v17, s[0:1], s8, v117
	v_addc_co_u32_e64 v118, s[0:1], v40, v118, s[0:1]
	v_add_co_u32_e64 v117, s[0:1], s14, v17
	v_addc_co_u32_e64 v118, s[0:1], 0, v118, s[0:1]
	global_load_dwordx4 v[156:159], v[0:1], off offset:3168
	global_load_dwordx4 v[160:163], v[117:118], off offset:3168
	v_add_u32_e32 v0, 0x270, v120
	v_mov_b32_e32 v1, v44
	v_lshlrev_b64 v[0:1], 4, v[0:1]
	v_add_u32_e32 v125, 0x2c00, v12
	v_add_co_u32_e64 v0, s[0:1], s8, v0
	v_addc_co_u32_e64 v1, s[0:1], v40, v1, s[0:1]
	v_add_co_u32_e64 v0, s[0:1], s14, v0
	v_addc_co_u32_e64 v1, s[0:1], 0, v1, s[0:1]
	global_load_dwordx4 v[164:167], v[0:1], off offset:3168
	ds_read_b64 v[0:1], v89
	ds_read2_b64 v[168:171], v95 offset0:32 offset1:128
	ds_read2_b64 v[172:175], v84 offset0:96 offset1:192
	;; [unrolled: 1-line block ×4, first 2 shown]
	ds_read_b64 v[117:118], v85
	ds_read_b64 v[216:217], v87
	;; [unrolled: 1-line block ×4, first 2 shown]
	ds_read2_b64 v[184:187], v52 offset0:32 offset1:128
	ds_read2_b64 v[188:191], v88 offset0:96 offset1:192
	ds_read_b64 v[222:223], v57
	ds_read_b64 v[224:225], v45
	;; [unrolled: 1-line block ×4, first 2 shown]
	ds_read2_b64 v[192:195], v92 offset0:32 offset1:128
	ds_read_b64 v[230:231], v99
	s_waitcnt vmcnt(14) lgkmcnt(14)
	v_mul_f64 v[232:233], v[168:169], v[62:63]
	v_mul_f64 v[62:63], v[13:14], v[62:63]
	s_waitcnt vmcnt(13)
	v_mul_f64 v[234:235], v[170:171], v[66:67]
	v_mul_f64 v[66:67], v[15:16], v[66:67]
	ds_read_b64 v[236:237], v94
	ds_read_b64 v[238:239], v93
	ds_read_b64 v[240:241], v100
	ds_read_b64 v[242:243], v91
	ds_read_b64 v[244:245], v90
	ds_read_b64 v[246:247], v89 offset:22272
	s_waitcnt vmcnt(0) lgkmcnt(0)
	s_barrier
	v_fma_f64 v[13:14], v[13:14], v[60:61], -v[232:233]
	v_fma_f64 v[60:61], v[168:169], v[60:61], v[62:63]
	v_fma_f64 v[15:16], v[15:16], v[64:65], -v[234:235]
	v_fma_f64 v[62:63], v[170:171], v[64:65], v[66:67]
	v_mul_f64 v[64:65], v[172:173], v[70:71]
	v_mul_f64 v[66:67], v[20:21], v[70:71]
	;; [unrolled: 1-line block ×8, first 2 shown]
	v_fma_f64 v[20:21], v[20:21], v[68:69], -v[64:65]
	v_fma_f64 v[64:65], v[172:173], v[68:69], v[66:67]
	v_fma_f64 v[22:23], v[22:23], v[72:73], -v[70:71]
	v_fma_f64 v[24:25], v[24:25], v[76:77], -v[168:169]
	v_fma_f64 v[68:69], v[176:177], v[76:77], v[78:79]
	v_fma_f64 v[26:27], v[26:27], v[105:106], -v[170:171]
	v_fma_f64 v[70:71], v[178:179], v[105:106], v[107:108]
	v_mul_f64 v[105:106], v[184:185], v[115:116]
	v_mul_f64 v[76:77], v[182:183], v[141:142]
	;; [unrolled: 1-line block ×3, first 2 shown]
	v_fma_f64 v[66:67], v[174:175], v[72:73], v[74:75]
	v_mul_f64 v[72:73], v[180:181], v[111:112]
	v_mul_f64 v[74:75], v[28:29], v[111:112]
	;; [unrolled: 1-line block ×4, first 2 shown]
	v_fma_f64 v[32:33], v[32:33], v[113:114], -v[105:106]
	v_fma_f64 v[30:31], v[30:31], v[139:140], -v[76:77]
	v_fma_f64 v[76:77], v[184:185], v[113:114], v[107:108]
	v_mul_f64 v[111:112], v[186:187], v[146:147]
	v_fma_f64 v[28:29], v[28:29], v[109:110], -v[72:73]
	v_fma_f64 v[72:73], v[180:181], v[109:110], v[74:75]
	v_mul_f64 v[105:106], v[188:189], v[150:151]
	v_mul_f64 v[109:110], v[190:191], v[154:155]
	v_fma_f64 v[74:75], v[182:183], v[139:140], v[78:79]
	v_fma_f64 v[78:79], v[186:187], v[144:145], v[115:116]
	v_mul_f64 v[107:108], v[36:37], v[150:151]
	v_fma_f64 v[34:35], v[34:35], v[144:145], -v[111:112]
	v_mul_f64 v[111:112], v[38:39], v[154:155]
	v_add_f64 v[13:14], v[41:42], -v[13:14]
	v_fma_f64 v[36:37], v[36:37], v[148:149], -v[105:106]
	v_fma_f64 v[38:39], v[38:39], v[152:153], -v[109:110]
	v_add_f64 v[15:16], v[208:209], -v[15:16]
	v_add_f64 v[22:23], v[80:81], -v[22:23]
	;; [unrolled: 1-line block ×8, first 2 shown]
	v_fma_f64 v[40:41], v[41:42], 2.0, -v[13:14]
	v_add_f64 v[24:25], v[196:197], -v[24:25]
	v_add_f64 v[26:27], v[212:213], -v[26:27]
	;; [unrolled: 1-line block ×3, first 2 shown]
	v_fma_f64 v[105:106], v[188:189], v[148:149], v[107:108]
	v_mul_f64 v[113:114], v[192:193], v[158:159]
	v_mul_f64 v[139:140], v[194:195], v[162:163]
	;; [unrolled: 1-line block ×4, first 2 shown]
	v_add_f64 v[148:149], v[117:118], -v[66:67]
	v_fma_f64 v[66:67], v[80:81], 2.0, -v[22:23]
	v_add_f64 v[162:163], v[220:221], -v[74:75]
	v_fma_f64 v[74:75], v[200:201], 2.0, -v[30:31]
	v_fma_f64 v[48:49], v[48:49], v[156:157], -v[113:114]
	v_fma_f64 v[50:51], v[50:51], v[160:161], -v[139:140]
	v_add_f64 v[139:140], v[0:1], -v[60:61]
	v_fma_f64 v[109:110], v[192:193], v[156:157], v[115:116]
	v_fma_f64 v[80:81], v[210:211], 2.0, -v[36:37]
	v_fma_f64 v[6:7], v[6:7], 2.0, -v[38:39]
	v_mul_f64 v[113:114], v[246:247], v[166:167]
	v_mul_f64 v[115:116], v[214:215], v[166:167]
	v_add_f64 v[48:49], v[2:3], -v[48:49]
	v_add_f64 v[50:51], v[4:5], -v[50:51]
	;; [unrolled: 1-line block ×3, first 2 shown]
	v_fma_f64 v[64:65], v[206:207], 2.0, -v[20:21]
	v_fma_f64 v[107:108], v[190:191], v[152:153], v[111:112]
	v_fma_f64 v[111:112], v[194:195], v[160:161], v[141:142]
	v_fma_f64 v[60:61], v[214:215], v[164:165], -v[113:114]
	v_fma_f64 v[113:114], v[0:1], 2.0, -v[139:140]
	v_fma_f64 v[0:1], v[208:209], 2.0, -v[15:16]
	;; [unrolled: 1-line block ×4, first 2 shown]
	v_add_f64 v[141:142], v[238:239], -v[62:63]
	v_fma_f64 v[62:63], v[246:247], v[164:165], v[115:116]
	v_add_f64 v[164:165], v[222:223], -v[76:77]
	v_add_f64 v[60:61], v[8:9], -v[60:61]
	;; [unrolled: 1-line block ×3, first 2 shown]
	v_fma_f64 v[76:77], v[202:203], 2.0, -v[32:33]
	v_fma_f64 v[78:79], v[204:205], 2.0, -v[34:35]
	v_add_f64 v[150:151], v[216:217], -v[68:69]
	v_add_f64 v[152:153], v[244:245], -v[70:71]
	v_add_f64 v[154:155], v[218:219], -v[72:73]
	v_fma_f64 v[68:69], v[196:197], 2.0, -v[24:25]
	v_fma_f64 v[8:9], v[8:9], 2.0, -v[60:61]
	v_fma_f64 v[70:71], v[212:213], 2.0, -v[26:27]
	v_fma_f64 v[72:73], v[198:199], 2.0, -v[28:29]
	ds_write_b64 v89, v[40:41]
	ds_write_b64 v89, v[13:14] offset:5760
	ds_write_b64 v93, v[0:1]
	ds_write_b64 v93, v[15:16] offset:5760
	;; [unrolled: 2-line block ×7, first 2 shown]
	v_mov_b32_e32 v0, 0x2d00
	v_cmp_lt_u32_e64 s[0:1], 47, v120
	v_cndmask_b32_e64 v0, 0, v0, s[0:1]
	v_lshlrev_b32_e32 v1, 3, v43
	v_add3_u32 v119, 0, v0, v1
	ds_write_b64 v119, v[74:75]
	ds_write_b64 v119, v[30:31] offset:5760
	ds_write2_b64 v130, v[80:81], v[6:7] offset0:144 offset1:240
	v_add_u32_e32 v7, 0x3800, v12
	v_add_u32_e32 v127, 0x4800, v12
	;; [unrolled: 1-line block ×3, first 2 shown]
	ds_write2_b64 v7, v[2:3], v[4:5] offset0:80 offset1:176
	v_add_u32_e32 v2, 0x4000, v12
	v_add_u32_e32 v3, 0x5000, v12
	v_add_f64 v[176:177], v[240:241], -v[62:63]
	ds_write2_b64 v125, v[76:77], v[78:79] offset0:80 offset1:176
	ds_write2_b64 v127, v[34:35], v[36:37] offset1:96
	ds_write2_b64 v6, v[38:39], v[48:49] offset0:64 offset1:160
	ds_write2_b64 v2, v[8:9], v[32:33] offset0:16 offset1:160
	;; [unrolled: 1-line block ×3, first 2 shown]
	s_waitcnt lgkmcnt(0)
	s_barrier
	ds_read_b64 v[60:61], v89
	ds_read2_b64 v[12:15], v95 offset0:32 offset1:128
	ds_read2_b64 v[20:23], v84 offset0:96 offset1:192
	;; [unrolled: 1-line block ×4, first 2 shown]
	ds_read_b64 v[62:63], v85
	ds_read_b64 v[68:69], v87
	;; [unrolled: 1-line block ×4, first 2 shown]
	ds_read2_b64 v[40:43], v52 offset0:32 offset1:128
	ds_read2_b64 v[32:35], v88 offset0:96 offset1:192
	ds_read_b64 v[76:77], v57
	ds_read_b64 v[78:79], v45
	;; [unrolled: 1-line block ×4, first 2 shown]
	ds_read2_b64 v[24:27], v92 offset0:32 offset1:128
	ds_read_b64 v[16:17], v99
	ds_read_b64 v[66:67], v94
	;; [unrolled: 1-line block ×6, first 2 shown]
	ds_read_b64 v[0:1], v89 offset:22272
	v_add_f64 v[105:106], v[242:243], -v[105:106]
	v_add_f64 v[107:108], v[226:227], -v[107:108]
	;; [unrolled: 1-line block ×4, first 2 shown]
	v_fma_f64 v[115:116], v[238:239], 2.0, -v[141:142]
	v_fma_f64 v[146:147], v[236:237], 2.0, -v[144:145]
	;; [unrolled: 1-line block ×14, first 2 shown]
	s_waitcnt lgkmcnt(0)
	s_barrier
	ds_write_b64 v89, v[113:114]
	ds_write_b64 v89, v[139:140] offset:5760
	ds_write_b64 v93, v[115:116]
	ds_write_b64 v93, v[141:142] offset:5760
	;; [unrolled: 2-line block ×8, first 2 shown]
	ds_write2_b64 v125, v[170:171], v[172:173] offset0:80 offset1:176
	ds_write2_b64 v127, v[166:167], v[105:106] offset1:96
	ds_write2_b64 v130, v[174:175], v[178:179] offset0:144 offset1:240
	ds_write2_b64 v6, v[107:108], v[109:110] offset0:64 offset1:160
	;; [unrolled: 1-line block ×5, first 2 shown]
	s_waitcnt lgkmcnt(0)
	s_barrier
	s_and_saveexec_b64 s[0:1], vcc
	s_cbranch_execz .LBB0_15
; %bb.14:
	v_mov_b32_e32 v144, v44
	v_lshlrev_b64 v[2:3], 4, v[143:144]
	v_mov_b32_e32 v119, s9
	v_add_co_u32_e32 v2, vcc, s8, v2
	v_addc_co_u32_e32 v3, vcc, v119, v3, vcc
	v_add_co_u32_e32 v2, vcc, 0x5000, v2
	v_addc_co_u32_e32 v3, vcc, 0, v3, vcc
	global_load_dwordx4 v[6:9], v[2:3], off offset:2400
	v_mov_b32_e32 v135, v44
	v_lshlrev_b64 v[2:3], 4, v[134:135]
	v_mov_b32_e32 v130, v44
	v_add_co_u32_e32 v2, vcc, s8, v2
	v_addc_co_u32_e32 v3, vcc, v119, v3, vcc
	v_add_co_u32_e32 v2, vcc, s10, v2
	v_addc_co_u32_e32 v3, vcc, 0, v3, vcc
	global_load_dwordx4 v[105:108], v[2:3], off offset:2400
	v_lshlrev_b64 v[2:3], 4, v[129:130]
	v_mov_b32_e32 v139, v44
	v_add_co_u32_e32 v2, vcc, s8, v2
	v_addc_co_u32_e32 v3, vcc, v119, v3, vcc
	v_add_co_u32_e32 v2, vcc, s10, v2
	v_addc_co_u32_e32 v3, vcc, 0, v3, vcc
	global_load_dwordx4 v[109:112], v[2:3], off offset:2400
	;; [unrolled: 7-line block ×3, first 2 shown]
	v_mul_i32_i24_e32 v94, 0xffffffb8, v136
	ds_read_b64 v[117:118], v100
	ds_read_b64 v[99:100], v99
	ds_read2_b64 v[133:136], v92 offset0:32 offset1:128
	ds_read_b64 v[157:158], v91
	ds_read_b64 v[159:160], v90
	ds_read_b64 v[2:3], v89 offset:22272
	ds_read_b64 v[161:162], v89
	v_lshlrev_b64 v[89:90], 4, v[128:129]
	v_mul_i32_i24_e32 v93, 0xffffffb8, v132
	v_mov_b32_e32 v125, v44
	v_mov_b32_e32 v132, v44
	;; [unrolled: 1-line block ×3, first 2 shown]
	v_add_co_u32_e32 v44, vcc, s8, v89
	v_addc_co_u32_e32 v90, vcc, v119, v90, vcc
	v_add_co_u32_e32 v89, vcc, s10, v44
	v_addc_co_u32_e32 v90, vcc, 0, v90, vcc
	global_load_dwordx4 v[89:92], v[89:90], off offset:2400
	v_lshlrev_b64 v[124:125], 4, v[124:125]
	v_lshlrev_b64 v[128:129], 4, v[131:132]
	v_add_co_u32_e32 v44, vcc, s8, v124
	v_addc_co_u32_e32 v125, vcc, v119, v125, vcc
	v_add_co_u32_e32 v130, vcc, s8, v128
	v_addc_co_u32_e32 v131, vcc, v119, v129, vcc
	;; [unrolled: 2-line block ×3, first 2 shown]
	v_lshlrev_b64 v[137:138], 4, v[126:127]
	global_load_dwordx4 v[124:127], v[124:125], off offset:2400
	ds_read2_b64 v[149:152], v52 offset0:32 offset1:128
	v_add_u32_e32 v83, v83, v94
	ds_read_b64 v[163:164], v46
	s_waitcnt vmcnt(5) lgkmcnt(3)
	v_mul_f64 v[128:129], v[6:7], v[2:3]
	v_mul_f64 v[2:3], v[8:9], v[2:3]
	v_fma_f64 v[8:9], v[0:1], v[8:9], v[128:129]
	v_fma_f64 v[0:1], v[0:1], v[6:7], -v[2:3]
	v_add_co_u32_e32 v2, vcc, s10, v130
	v_addc_co_u32_e32 v3, vcc, 0, v131, vcc
	global_load_dwordx4 v[128:131], v[2:3], off offset:2400
	s_waitcnt vmcnt(5)
	v_mul_f64 v[139:140], v[105:106], v[135:136]
	v_mul_f64 v[135:136], v[107:108], v[135:136]
	v_add_co_u32_e32 v6, vcc, s8, v137
	v_addc_co_u32_e32 v7, vcc, v119, v138, vcc
	v_add_co_u32_e32 v6, vcc, s10, v6
	v_addc_co_u32_e32 v7, vcc, 0, v7, vcc
	v_fma_f64 v[145:146], v[26:27], v[107:108], v[139:140]
	v_fma_f64 v[26:27], v[26:27], v[105:106], -v[135:136]
	global_load_dwordx4 v[105:108], v[6:7], off offset:2400
	v_add_co_u32_e32 v6, vcc, s10, v10
	v_addc_co_u32_e32 v7, vcc, 0, v11, vcc
	global_load_dwordx4 v[135:138], v[6:7], off offset:2400
	s_waitcnt vmcnt(6)
	v_mul_f64 v[143:144], v[109:110], v[133:134]
	v_add_f64 v[2:3], v[117:118], -v[8:9]
	ds_read2_b64 v[139:142], v88 offset0:96 offset1:192
	v_add_co_u32_e32 v103, vcc, s10, v103
	v_addc_co_u32_e32 v104, vcc, 0, v104, vcc
	v_add_co_u32_e32 v18, vcc, s10, v18
	v_addc_co_u32_e32 v19, vcc, 0, v19, vcc
	v_add_f64 v[10:11], v[99:100], -v[145:146]
	global_load_dwordx4 v[145:148], v[18:19], off offset:2400
	v_fma_f64 v[6:7], v[117:118], 2.0, -v[2:3]
	v_add_f64 v[8:9], v[16:17], -v[26:27]
	v_fma_f64 v[26:27], v[24:25], v[111:112], v[143:144]
	v_mul_f64 v[111:112], v[111:112], v[133:134]
	s_waitcnt vmcnt(6) lgkmcnt(0)
	v_mul_f64 v[117:118], v[113:114], v[141:142]
	v_mul_f64 v[132:133], v[115:116], v[141:142]
	global_load_dwordx4 v[141:144], v[103:104], off offset:2400
	ds_read_b64 v[103:104], v47
	v_fma_f64 v[18:19], v[99:100], 2.0, -v[10:11]
	v_fma_f64 v[16:17], v[16:17], 2.0, -v[8:9]
	v_add_f64 v[0:1], v[4:5], -v[0:1]
	v_fma_f64 v[24:25], v[24:25], v[109:110], -v[111:112]
	v_fma_f64 v[46:47], v[34:35], v[115:116], v[117:118]
	v_fma_f64 v[109:110], v[34:35], v[113:114], -v[132:133]
	v_add_co_u32_e32 v34, vcc, s10, v101
	v_addc_co_u32_e32 v35, vcc, 0, v102, vcc
	global_load_dwordx4 v[99:102], v[34:35], off offset:2400
	ds_read_b64 v[117:118], v45
	ds_read_b64 v[132:133], v57
	v_add_f64 v[44:45], v[48:49], -v[109:110]
	v_add_co_u32_e32 v109, vcc, s10, v59
	v_addc_co_u32_e32 v110, vcc, 0, v98, vcc
	global_load_dwordx4 v[109:112], v[109:110], off offset:2400
	s_waitcnt lgkmcnt(2)
	v_add_f64 v[26:27], v[103:104], -v[26:27]
	v_add_co_u32_e32 v113, vcc, s10, v55
	v_addc_co_u32_e32 v114, vcc, 0, v58, vcc
	global_load_dwordx4 v[113:116], v[113:114], off offset:2400
	v_add_co_u32_e32 v52, vcc, s10, v53
	v_addc_co_u32_e32 v53, vcc, 0, v54, vcc
	global_load_dwordx4 v[153:156], v[52:53], off offset:2400
	v_fma_f64 v[34:35], v[103:104], 2.0, -v[26:27]
	s_waitcnt vmcnt(10)
	v_mul_f64 v[103:104], v[89:90], v[139:140]
	s_waitcnt vmcnt(9)
	v_mul_f64 v[52:53], v[124:125], v[151:152]
	v_mul_f64 v[58:59], v[126:127], v[151:152]
	ds_read_b64 v[97:98], v97
	v_add_f64 v[24:25], v[50:51], -v[24:25]
	v_add_f64 v[46:47], v[163:164], -v[46:47]
	v_fma_f64 v[48:49], v[48:49], 2.0, -v[44:45]
	v_fma_f64 v[4:5], v[4:5], 2.0, -v[0:1]
	v_fma_f64 v[103:104], v[32:33], v[91:92], v[103:104]
	v_mul_f64 v[91:92], v[91:92], v[139:140]
	v_fma_f64 v[124:125], v[42:43], v[124:125], -v[58:59]
	v_add_f64 v[54:55], v[157:158], -v[103:104]
	v_fma_f64 v[88:89], v[32:33], v[89:90], -v[91:92]
	s_waitcnt vmcnt(8)
	v_mul_f64 v[90:91], v[128:129], v[149:150]
	v_fma_f64 v[103:104], v[42:43], v[126:127], v[52:53]
	v_mul_f64 v[126:127], v[130:131], v[149:150]
	v_fma_f64 v[32:33], v[50:51], 2.0, -v[24:25]
	v_fma_f64 v[50:51], v[163:164], 2.0, -v[46:47]
	;; [unrolled: 1-line block ×3, first 2 shown]
	v_add_f64 v[52:53], v[80:81], -v[88:89]
	v_fma_f64 v[130:131], v[40:41], v[130:131], v[90:91]
	ds_read2_b64 v[88:91], v56 offset0:96 offset1:192
	s_waitcnt lgkmcnt(3)
	v_add_f64 v[58:59], v[117:118], -v[103:104]
	v_add_f64 v[56:57], v[78:79], -v[124:125]
	v_fma_f64 v[124:125], v[40:41], v[128:129], -v[126:127]
	s_waitcnt vmcnt(7) lgkmcnt(0)
	v_mul_f64 v[103:104], v[105:106], v[90:91]
	v_mul_f64 v[90:91], v[107:108], v[90:91]
	s_waitcnt vmcnt(6)
	v_mul_f64 v[128:129], v[135:136], v[88:89]
	v_add_f64 v[126:127], v[132:133], -v[130:131]
	v_fma_f64 v[40:41], v[80:81], 2.0, -v[52:53]
	v_fma_f64 v[80:81], v[117:118], 2.0, -v[58:59]
	v_add_f64 v[124:125], v[76:77], -v[124:125]
	v_fma_f64 v[78:79], v[78:79], 2.0, -v[56:57]
	v_fma_f64 v[103:104], v[38:39], v[107:108], v[103:104]
	v_fma_f64 v[38:39], v[38:39], v[105:106], -v[90:91]
	v_fma_f64 v[117:118], v[36:37], v[137:138], v[128:129]
	v_fma_f64 v[107:108], v[132:133], 2.0, -v[126:127]
	ds_read2_b64 v[128:131], v86 offset0:32 offset1:128
	ds_read_b64 v[132:133], v96
	ds_read_b64 v[139:140], v87
	v_fma_f64 v[105:106], v[76:77], 2.0, -v[124:125]
	v_add_f64 v[90:91], v[97:98], -v[103:104]
	v_mul_f64 v[103:104], v[137:138], v[88:89]
	v_add_f64 v[88:89], v[74:75], -v[38:39]
	s_waitcnt lgkmcnt(1)
	v_add_f64 v[38:39], v[132:133], -v[117:118]
	s_waitcnt vmcnt(4)
	v_mul_f64 v[117:118], v[143:144], v[130:131]
	v_mul_f64 v[137:138], v[141:142], v[130:131]
	v_fma_f64 v[76:77], v[97:98], 2.0, -v[90:91]
	v_mul_f64 v[96:97], v[145:146], v[128:129]
	v_fma_f64 v[36:37], v[36:37], v[135:136], -v[103:104]
	v_mul_f64 v[134:135], v[147:148], v[128:129]
	v_fma_f64 v[117:118], v[30:31], v[141:142], -v[117:118]
	ds_read2_b64 v[128:131], v84 offset0:96 offset1:192
	v_fma_f64 v[103:104], v[30:31], v[143:144], v[137:138]
	v_fma_f64 v[74:75], v[74:75], 2.0, -v[88:89]
	v_fma_f64 v[96:97], v[28:29], v[147:148], v[96:97]
	s_waitcnt vmcnt(3) lgkmcnt(0)
	v_mul_f64 v[136:137], v[99:100], v[130:131]
	v_fma_f64 v[134:135], v[28:29], v[145:146], -v[134:135]
	v_mul_f64 v[141:142], v[101:102], v[130:131]
	v_add_f64 v[28:29], v[72:73], -v[117:118]
	ds_read_b64 v[117:118], v85
	v_fma_f64 v[86:87], v[132:133], 2.0, -v[38:39]
	v_add_f64 v[36:37], v[70:71], -v[36:37]
	v_add_f64 v[132:133], v[139:140], -v[96:97]
	ds_read2_b64 v[95:98], v95 offset0:32 offset1:128
	v_add_f64 v[130:131], v[68:69], -v[134:135]
	v_fma_f64 v[134:135], v[22:23], v[101:102], v[136:137]
	v_fma_f64 v[22:23], v[22:23], v[99:100], -v[141:142]
	v_fma_f64 v[101:102], v[72:73], 2.0, -v[28:29]
	s_waitcnt vmcnt(2)
	v_mul_f64 v[72:73], v[109:110], v[128:129]
	v_mul_f64 v[99:100], v[111:112], v[128:129]
	v_add_f64 v[30:31], v[159:160], -v[103:104]
	v_fma_f64 v[68:69], v[68:69], 2.0, -v[130:131]
	v_fma_f64 v[72:73], v[20:21], v[111:112], v[72:73]
	ds_read_b64 v[111:112], v83
	s_waitcnt lgkmcnt(2)
	v_add_f64 v[136:137], v[117:118], -v[134:135]
	v_add_f64 v[134:135], v[62:63], -v[22:23]
	s_waitcnt vmcnt(1) lgkmcnt(1)
	v_mul_f64 v[22:23], v[113:114], v[97:98]
	v_fma_f64 v[20:21], v[20:21], v[109:110], -v[99:100]
	s_waitcnt vmcnt(0)
	v_mul_f64 v[99:100], v[153:154], v[95:96]
	v_mul_f64 v[94:95], v[155:156], v[95:96]
	;; [unrolled: 1-line block ×3, first 2 shown]
	v_fma_f64 v[84:85], v[70:71], 2.0, -v[36:37]
	v_fma_f64 v[70:71], v[139:140], 2.0, -v[132:133]
	;; [unrolled: 1-line block ×3, first 2 shown]
	v_fma_f64 v[109:110], v[14:15], v[115:116], v[22:23]
	s_waitcnt lgkmcnt(0)
	v_add_f64 v[22:23], v[111:112], -v[72:73]
	v_add_u32_e32 v72, v82, v93
	v_fma_f64 v[82:83], v[12:13], v[155:156], v[99:100]
	v_fma_f64 v[12:13], v[12:13], v[153:154], -v[94:95]
	ds_read_b64 v[72:73], v72
	v_fma_f64 v[14:15], v[14:15], v[113:114], -v[97:98]
	v_add_f64 v[20:21], v[66:67], -v[20:21]
	v_fma_f64 v[96:97], v[62:63], 2.0, -v[134:135]
	v_fma_f64 v[111:112], v[111:112], 2.0, -v[22:23]
	s_waitcnt lgkmcnt(0)
	v_add_f64 v[94:95], v[72:73], -v[109:110]
	v_add_f64 v[115:116], v[161:162], -v[82:83]
	;; [unrolled: 1-line block ×3, first 2 shown]
	v_mul_lo_u32 v12, s3, v120
	v_add_f64 v[92:93], v[64:65], -v[14:15]
	v_mul_lo_u32 v13, s2, v121
	v_mad_u64_u32 v[14:15], s[0:1], s2, v120, 0
	v_add_u32_e32 v82, 0x5a0, v120
	v_fma_f64 v[62:63], v[161:162], 2.0, -v[115:116]
	v_fma_f64 v[60:61], v[60:61], 2.0, -v[113:114]
	v_add3_u32 v15, v15, v13, v12
	v_fma_f64 v[109:110], v[66:67], 2.0, -v[20:21]
	v_fma_f64 v[66:67], v[72:73], 2.0, -v[94:95]
	v_mov_b32_e32 v13, s13
	v_add_co_u32_e32 v12, vcc, s12, v122
	v_lshlrev_b64 v[14:15], 4, v[14:15]
	v_mad_u64_u32 v[72:73], s[0:1], s2, v82, 0
	v_addc_co_u32_e32 v13, vcc, v13, v123, vcc
	v_add_co_u32_e32 v14, vcc, v12, v14
	v_addc_co_u32_e32 v15, vcc, v13, v15, vcc
	global_store_dwordx4 v[14:15], v[60:63], off
	v_mov_b32_e32 v14, v73
	v_mad_u64_u32 v[14:15], s[0:1], s3, v82, v[14:15]
	v_add_u32_e32 v62, 0x60, v120
	v_mad_u64_u32 v[60:61], s[0:1], s2, v62, 0
	v_mov_b32_e32 v73, v14
	v_lshlrev_b64 v[14:15], 4, v[72:73]
	v_mad_u64_u32 v[61:62], s[4:5], s3, v62, v[61:62]
	v_add_co_u32_e32 v14, vcc, v12, v14
	v_addc_co_u32_e32 v15, vcc, v13, v15, vcc
	v_or_b32_e32 v62, 0x600, v120
	global_store_dwordx4 v[14:15], v[113:116], off
	v_lshlrev_b64 v[14:15], 4, v[60:61]
	v_mad_u64_u32 v[60:61], s[4:5], s2, v62, 0
	v_fma_f64 v[64:65], v[64:65], 2.0, -v[92:93]
	v_add_u32_e32 v72, 0xc0, v120
	v_mad_u64_u32 v[61:62], s[4:5], s3, v62, v[61:62]
	v_mad_u64_u32 v[62:63], s[4:5], s2, v72, 0
	v_add_co_u32_e32 v14, vcc, v12, v14
	v_addc_co_u32_e32 v15, vcc, v13, v15, vcc
	global_store_dwordx4 v[14:15], v[64:67], off
	v_lshlrev_b64 v[14:15], 4, v[60:61]
	v_mov_b32_e32 v60, v63
	v_mad_u64_u32 v[60:61], s[4:5], s3, v72, v[60:61]
	v_add_co_u32_e32 v14, vcc, v12, v14
	v_addc_co_u32_e32 v15, vcc, v13, v15, vcc
	v_mov_b32_e32 v63, v60
	global_store_dwordx4 v[14:15], v[92:95], off
	v_lshlrev_b64 v[14:15], 4, v[62:63]
	v_add_u32_e32 v62, 0x660, v120
	v_mad_u64_u32 v[60:61], s[4:5], s2, v62, 0
	v_add_co_u32_e32 v14, vcc, v12, v14
	v_mad_u64_u32 v[61:62], s[4:5], s3, v62, v[61:62]
	v_addc_co_u32_e32 v15, vcc, v13, v15, vcc
	v_add_u32_e32 v64, 0x120, v120
	v_mad_u64_u32 v[62:63], s[4:5], s2, v64, 0
	global_store_dwordx4 v[14:15], v[109:112], off
	v_lshlrev_b64 v[14:15], 4, v[60:61]
	v_mov_b32_e32 v60, v63
	v_add_co_u32_e32 v14, vcc, v12, v14
	v_addc_co_u32_e32 v15, vcc, v13, v15, vcc
	global_store_dwordx4 v[14:15], v[20:23], off
	v_mad_u64_u32 v[60:61], s[4:5], s3, v64, v[60:61]
	v_add_u32_e32 v22, 0x6c0, v120
	v_mad_u64_u32 v[20:21], s[4:5], s2, v22, 0
	v_fma_f64 v[98:99], v[117:118], 2.0, -v[136:137]
	v_mov_b32_e32 v63, v60
	v_mad_u64_u32 v[21:22], s[4:5], s3, v22, v[21:22]
	v_or_b32_e32 v60, 0x180, v120
	v_lshlrev_b64 v[14:15], 4, v[62:63]
	v_mad_u64_u32 v[22:23], s[4:5], s2, v60, 0
	v_add_co_u32_e32 v14, vcc, v12, v14
	v_addc_co_u32_e32 v15, vcc, v13, v15, vcc
	global_store_dwordx4 v[14:15], v[96:99], off
	v_lshlrev_b64 v[14:15], 4, v[20:21]
	v_mov_b32_e32 v20, v23
	v_mad_u64_u32 v[20:21], s[4:5], s3, v60, v[20:21]
	v_add_co_u32_e32 v14, vcc, v12, v14
	v_addc_co_u32_e32 v15, vcc, v13, v15, vcc
	v_mov_b32_e32 v23, v20
	global_store_dwordx4 v[14:15], v[134:137], off
	v_lshlrev_b64 v[14:15], 4, v[22:23]
	v_add_u32_e32 v22, 0x720, v120
	v_mad_u64_u32 v[20:21], s[4:5], s2, v22, 0
	v_add_u32_e32 v60, 0x1e0, v120
	v_add_co_u32_e32 v14, vcc, v12, v14
	v_mad_u64_u32 v[21:22], s[4:5], s3, v22, v[21:22]
	v_mad_u64_u32 v[22:23], s[4:5], s2, v60, 0
	v_addc_co_u32_e32 v15, vcc, v13, v15, vcc
	global_store_dwordx4 v[14:15], v[68:71], off
	v_lshlrev_b64 v[14:15], 4, v[20:21]
	v_mov_b32_e32 v20, v23
	v_mad_u64_u32 v[20:21], s[4:5], s3, v60, v[20:21]
	v_add_co_u32_e32 v14, vcc, v12, v14
	v_addc_co_u32_e32 v15, vcc, v13, v15, vcc
	v_mov_b32_e32 v23, v20
	global_store_dwordx4 v[14:15], v[130:133], off
	v_lshlrev_b64 v[14:15], 4, v[22:23]
	v_or_b32_e32 v22, 0x780, v120
	v_mad_u64_u32 v[20:21], s[4:5], s2, v22, 0
	v_add_u32_e32 v60, 0x240, v120
	v_add_co_u32_e32 v14, vcc, v12, v14
	v_mad_u64_u32 v[21:22], s[4:5], s3, v22, v[21:22]
	v_mad_u64_u32 v[22:23], s[4:5], s2, v60, 0
	v_addc_co_u32_e32 v15, vcc, v13, v15, vcc
	global_store_dwordx4 v[14:15], v[101:104], off
	v_lshlrev_b64 v[14:15], 4, v[20:21]
	v_mov_b32_e32 v20, v23
	v_mad_u64_u32 v[20:21], s[4:5], s3, v60, v[20:21]
	v_add_co_u32_e32 v14, vcc, v12, v14
	v_addc_co_u32_e32 v15, vcc, v13, v15, vcc
	v_mov_b32_e32 v23, v20
	global_store_dwordx4 v[14:15], v[28:31], off
	v_lshlrev_b64 v[14:15], 4, v[22:23]
	v_add_u32_e32 v22, 0x7e0, v120
	v_mad_u64_u32 v[20:21], s[4:5], s2, v22, 0
	v_add_u32_e32 v28, 0x2a0, v120
	v_add_co_u32_e32 v14, vcc, v12, v14
	v_mad_u64_u32 v[21:22], s[4:5], s3, v22, v[21:22]
	v_mad_u64_u32 v[22:23], s[4:5], s2, v28, 0
	v_addc_co_u32_e32 v15, vcc, v13, v15, vcc
	global_store_dwordx4 v[14:15], v[84:87], off
	v_lshlrev_b64 v[14:15], 4, v[20:21]
	v_mov_b32_e32 v20, v23
	v_mad_u64_u32 v[20:21], s[4:5], s3, v28, v[20:21]
	v_add_co_u32_e32 v14, vcc, v12, v14
	v_addc_co_u32_e32 v15, vcc, v13, v15, vcc
	v_mov_b32_e32 v23, v20
	global_store_dwordx4 v[14:15], v[36:39], off
	v_lshlrev_b64 v[14:15], 4, v[22:23]
	v_add_u32_e32 v22, 0x840, v120
	v_mad_u64_u32 v[20:21], s[4:5], s2, v22, 0
	v_or_b32_e32 v28, 0x300, v120
	v_add_co_u32_e32 v14, vcc, v12, v14
	v_mad_u64_u32 v[21:22], s[4:5], s3, v22, v[21:22]
	v_mad_u64_u32 v[22:23], s[4:5], s2, v28, 0
	v_addc_co_u32_e32 v15, vcc, v13, v15, vcc
	global_store_dwordx4 v[14:15], v[74:77], off
	v_lshlrev_b64 v[14:15], 4, v[20:21]
	v_mov_b32_e32 v20, v23
	v_mad_u64_u32 v[20:21], s[4:5], s3, v28, v[20:21]
	v_add_co_u32_e32 v14, vcc, v12, v14
	v_addc_co_u32_e32 v15, vcc, v13, v15, vcc
	v_mov_b32_e32 v23, v20
	global_store_dwordx4 v[14:15], v[88:91], off
	v_lshlrev_b64 v[14:15], 4, v[22:23]
	v_add_u32_e32 v22, 0x8a0, v120
	v_mad_u64_u32 v[20:21], s[4:5], s2, v22, 0
	v_add_u32_e32 v28, 0x360, v120
	v_add_co_u32_e32 v14, vcc, v12, v14
	v_mad_u64_u32 v[21:22], s[4:5], s3, v22, v[21:22]
	v_mad_u64_u32 v[22:23], s[4:5], s2, v28, 0
	v_addc_co_u32_e32 v15, vcc, v13, v15, vcc
	global_store_dwordx4 v[14:15], v[105:108], off
	v_lshlrev_b64 v[14:15], 4, v[20:21]
	v_mov_b32_e32 v20, v23
	v_mad_u64_u32 v[20:21], s[4:5], s3, v28, v[20:21]
	v_add_co_u32_e32 v14, vcc, v12, v14
	v_addc_co_u32_e32 v15, vcc, v13, v15, vcc
	v_mov_b32_e32 v23, v20
	global_store_dwordx4 v[14:15], v[124:127], off
	v_lshlrev_b64 v[14:15], 4, v[22:23]
	v_add_u32_e32 v23, 0x3c0, v120
	v_or_b32_e32 v22, 0x900, v120
	v_lshrrev_b32_e32 v28, 5, v23
	s_mov_b32 s1, 0x5b05b06
	v_mad_u64_u32 v[20:21], s[4:5], s2, v22, 0
	v_mul_hi_u32 v28, v28, s1
	s_movk_i32 s0, 0x5a0
	v_mad_u64_u32 v[21:22], s[4:5], s3, v22, v[21:22]
	v_mad_u32_u24 v28, v28, s0, v23
	v_mad_u64_u32 v[22:23], s[4:5], s2, v28, 0
	v_add_co_u32_e32 v14, vcc, v12, v14
	v_addc_co_u32_e32 v15, vcc, v13, v15, vcc
	global_store_dwordx4 v[14:15], v[78:81], off
	v_lshlrev_b64 v[14:15], 4, v[20:21]
	v_mov_b32_e32 v20, v23
	v_mad_u64_u32 v[20:21], s[4:5], s3, v28, v[20:21]
	v_add_co_u32_e32 v14, vcc, v12, v14
	v_addc_co_u32_e32 v15, vcc, v13, v15, vcc
	v_mov_b32_e32 v23, v20
	global_store_dwordx4 v[14:15], v[56:59], off
	v_lshlrev_b64 v[14:15], 4, v[22:23]
	v_add_u32_e32 v22, 0x5a0, v28
	v_mad_u64_u32 v[20:21], s[4:5], s2, v22, 0
	v_add_u32_e32 v28, 0x420, v120
	v_add_co_u32_e32 v14, vcc, v12, v14
	v_mad_u64_u32 v[21:22], s[4:5], s3, v22, v[21:22]
	v_mad_u64_u32 v[22:23], s[4:5], s2, v28, 0
	v_addc_co_u32_e32 v15, vcc, v13, v15, vcc
	global_store_dwordx4 v[14:15], v[40:43], off
	v_lshlrev_b64 v[14:15], 4, v[20:21]
	v_mov_b32_e32 v20, v23
	v_mad_u64_u32 v[20:21], s[4:5], s3, v28, v[20:21]
	v_add_co_u32_e32 v14, vcc, v12, v14
	v_addc_co_u32_e32 v15, vcc, v13, v15, vcc
	v_mov_b32_e32 v23, v20
	global_store_dwordx4 v[14:15], v[52:55], off
	v_lshlrev_b64 v[14:15], 4, v[22:23]
	v_add_u32_e32 v22, 0x9c0, v120
	v_mad_u64_u32 v[20:21], s[4:5], s2, v22, 0
	v_or_b32_e32 v28, 0x480, v120
	v_add_co_u32_e32 v14, vcc, v12, v14
	v_mad_u64_u32 v[21:22], s[4:5], s3, v22, v[21:22]
	v_mad_u64_u32 v[22:23], s[4:5], s2, v28, 0
	v_addc_co_u32_e32 v15, vcc, v13, v15, vcc
	global_store_dwordx4 v[14:15], v[48:51], off
	v_lshlrev_b64 v[14:15], 4, v[20:21]
	v_mov_b32_e32 v20, v23
	v_mad_u64_u32 v[20:21], s[4:5], s3, v28, v[20:21]
	v_add_co_u32_e32 v14, vcc, v12, v14
	v_addc_co_u32_e32 v15, vcc, v13, v15, vcc
	v_mov_b32_e32 v23, v20
	global_store_dwordx4 v[14:15], v[44:47], off
	v_lshlrev_b64 v[14:15], 4, v[22:23]
	v_add_u32_e32 v23, 0x4e0, v120
	v_add_u32_e32 v22, 0xa20, v120
	v_lshrrev_b32_e32 v28, 5, v23
	v_mad_u64_u32 v[20:21], s[4:5], s2, v22, 0
	v_mul_hi_u32 v28, v28, s1
	v_add_co_u32_e32 v14, vcc, v12, v14
	v_mad_u64_u32 v[21:22], s[4:5], s3, v22, v[21:22]
	v_mad_u32_u24 v28, v28, s0, v23
	v_mad_u64_u32 v[22:23], s[4:5], s2, v28, 0
	v_addc_co_u32_e32 v15, vcc, v13, v15, vcc
	global_store_dwordx4 v[14:15], v[32:35], off
	v_lshlrev_b64 v[14:15], 4, v[20:21]
	v_mov_b32_e32 v20, v23
	v_mad_u64_u32 v[20:21], s[4:5], s3, v28, v[20:21]
	v_add_co_u32_e32 v14, vcc, v12, v14
	v_addc_co_u32_e32 v15, vcc, v13, v15, vcc
	v_mov_b32_e32 v23, v20
	global_store_dwordx4 v[14:15], v[24:27], off
	v_lshlrev_b64 v[14:15], 4, v[22:23]
	v_add_u32_e32 v22, 0x5a0, v28
	v_mad_u64_u32 v[20:21], s[4:5], s2, v22, 0
	v_add_co_u32_e32 v14, vcc, v12, v14
	v_mad_u64_u32 v[21:22], s[4:5], s3, v22, v[21:22]
	v_add_u32_e32 v22, 0x540, v120
	v_lshrrev_b32_e32 v23, 5, v22
	v_mul_hi_u32 v23, v23, s1
	v_addc_co_u32_e32 v15, vcc, v13, v15, vcc
	global_store_dwordx4 v[14:15], v[16:19], off
	v_lshlrev_b64 v[14:15], 4, v[20:21]
	v_mad_u32_u24 v19, v23, s0, v22
	v_mad_u64_u32 v[16:17], s[0:1], s2, v19, 0
	v_add_u32_e32 v20, 0x5a0, v19
	v_add_co_u32_e32 v14, vcc, v12, v14
	v_mad_u64_u32 v[17:18], s[0:1], s3, v19, v[17:18]
	v_mad_u64_u32 v[18:19], s[0:1], s2, v20, 0
	v_addc_co_u32_e32 v15, vcc, v13, v15, vcc
	global_store_dwordx4 v[14:15], v[8:11], off
	s_nop 0
	v_mov_b32_e32 v10, v19
	v_mad_u64_u32 v[10:11], s[0:1], s3, v20, v[10:11]
	v_lshlrev_b64 v[8:9], 4, v[16:17]
	v_add_co_u32_e32 v8, vcc, v12, v8
	v_addc_co_u32_e32 v9, vcc, v13, v9, vcc
	v_mov_b32_e32 v19, v10
	global_store_dwordx4 v[8:9], v[4:7], off
	s_nop 0
	v_lshlrev_b64 v[4:5], 4, v[18:19]
	v_add_co_u32_e32 v4, vcc, v12, v4
	v_addc_co_u32_e32 v5, vcc, v13, v5, vcc
	global_store_dwordx4 v[4:5], v[0:3], off
.LBB0_15:
	s_endpgm
	.section	.rodata,"a",@progbits
	.p2align	6, 0x0
	.amdhsa_kernel fft_rtc_fwd_len2880_factors_10_6_6_2_2_2_wgs_96_tpt_96_halfLds_dp_ip_CI_sbrr_dirReg
		.amdhsa_group_segment_fixed_size 0
		.amdhsa_private_segment_fixed_size 0
		.amdhsa_kernarg_size 88
		.amdhsa_user_sgpr_count 6
		.amdhsa_user_sgpr_private_segment_buffer 1
		.amdhsa_user_sgpr_dispatch_ptr 0
		.amdhsa_user_sgpr_queue_ptr 0
		.amdhsa_user_sgpr_kernarg_segment_ptr 1
		.amdhsa_user_sgpr_dispatch_id 0
		.amdhsa_user_sgpr_flat_scratch_init 0
		.amdhsa_user_sgpr_private_segment_size 0
		.amdhsa_uses_dynamic_stack 0
		.amdhsa_system_sgpr_private_segment_wavefront_offset 0
		.amdhsa_system_sgpr_workgroup_id_x 1
		.amdhsa_system_sgpr_workgroup_id_y 0
		.amdhsa_system_sgpr_workgroup_id_z 0
		.amdhsa_system_sgpr_workgroup_info 0
		.amdhsa_system_vgpr_workitem_id 0
		.amdhsa_next_free_vgpr 248
		.amdhsa_next_free_sgpr 24
		.amdhsa_reserve_vcc 1
		.amdhsa_reserve_flat_scratch 0
		.amdhsa_float_round_mode_32 0
		.amdhsa_float_round_mode_16_64 0
		.amdhsa_float_denorm_mode_32 3
		.amdhsa_float_denorm_mode_16_64 3
		.amdhsa_dx10_clamp 1
		.amdhsa_ieee_mode 1
		.amdhsa_fp16_overflow 0
		.amdhsa_exception_fp_ieee_invalid_op 0
		.amdhsa_exception_fp_denorm_src 0
		.amdhsa_exception_fp_ieee_div_zero 0
		.amdhsa_exception_fp_ieee_overflow 0
		.amdhsa_exception_fp_ieee_underflow 0
		.amdhsa_exception_fp_ieee_inexact 0
		.amdhsa_exception_int_div_zero 0
	.end_amdhsa_kernel
	.text
.Lfunc_end0:
	.size	fft_rtc_fwd_len2880_factors_10_6_6_2_2_2_wgs_96_tpt_96_halfLds_dp_ip_CI_sbrr_dirReg, .Lfunc_end0-fft_rtc_fwd_len2880_factors_10_6_6_2_2_2_wgs_96_tpt_96_halfLds_dp_ip_CI_sbrr_dirReg
                                        ; -- End function
	.section	.AMDGPU.csdata,"",@progbits
; Kernel info:
; codeLenInByte = 23880
; NumSgprs: 28
; NumVgprs: 248
; ScratchSize: 0
; MemoryBound: 1
; FloatMode: 240
; IeeeMode: 1
; LDSByteSize: 0 bytes/workgroup (compile time only)
; SGPRBlocks: 3
; VGPRBlocks: 61
; NumSGPRsForWavesPerEU: 28
; NumVGPRsForWavesPerEU: 248
; Occupancy: 1
; WaveLimiterHint : 1
; COMPUTE_PGM_RSRC2:SCRATCH_EN: 0
; COMPUTE_PGM_RSRC2:USER_SGPR: 6
; COMPUTE_PGM_RSRC2:TRAP_HANDLER: 0
; COMPUTE_PGM_RSRC2:TGID_X_EN: 1
; COMPUTE_PGM_RSRC2:TGID_Y_EN: 0
; COMPUTE_PGM_RSRC2:TGID_Z_EN: 0
; COMPUTE_PGM_RSRC2:TIDIG_COMP_CNT: 0
	.type	__hip_cuid_ccc78cfc5745b467,@object ; @__hip_cuid_ccc78cfc5745b467
	.section	.bss,"aw",@nobits
	.globl	__hip_cuid_ccc78cfc5745b467
__hip_cuid_ccc78cfc5745b467:
	.byte	0                               ; 0x0
	.size	__hip_cuid_ccc78cfc5745b467, 1

	.ident	"AMD clang version 19.0.0git (https://github.com/RadeonOpenCompute/llvm-project roc-6.4.0 25133 c7fe45cf4b819c5991fe208aaa96edf142730f1d)"
	.section	".note.GNU-stack","",@progbits
	.addrsig
	.addrsig_sym __hip_cuid_ccc78cfc5745b467
	.amdgpu_metadata
---
amdhsa.kernels:
  - .args:
      - .actual_access:  read_only
        .address_space:  global
        .offset:         0
        .size:           8
        .value_kind:     global_buffer
      - .offset:         8
        .size:           8
        .value_kind:     by_value
      - .actual_access:  read_only
        .address_space:  global
        .offset:         16
        .size:           8
        .value_kind:     global_buffer
      - .actual_access:  read_only
        .address_space:  global
        .offset:         24
        .size:           8
        .value_kind:     global_buffer
      - .offset:         32
        .size:           8
        .value_kind:     by_value
      - .actual_access:  read_only
        .address_space:  global
        .offset:         40
        .size:           8
        .value_kind:     global_buffer
      - .actual_access:  read_only
        .address_space:  global
        .offset:         48
        .size:           8
        .value_kind:     global_buffer
      - .offset:         56
        .size:           4
        .value_kind:     by_value
      - .actual_access:  read_only
        .address_space:  global
        .offset:         64
        .size:           8
        .value_kind:     global_buffer
      - .actual_access:  read_only
        .address_space:  global
        .offset:         72
        .size:           8
        .value_kind:     global_buffer
      - .address_space:  global
        .offset:         80
        .size:           8
        .value_kind:     global_buffer
    .group_segment_fixed_size: 0
    .kernarg_segment_align: 8
    .kernarg_segment_size: 88
    .language:       OpenCL C
    .language_version:
      - 2
      - 0
    .max_flat_workgroup_size: 96
    .name:           fft_rtc_fwd_len2880_factors_10_6_6_2_2_2_wgs_96_tpt_96_halfLds_dp_ip_CI_sbrr_dirReg
    .private_segment_fixed_size: 0
    .sgpr_count:     28
    .sgpr_spill_count: 0
    .symbol:         fft_rtc_fwd_len2880_factors_10_6_6_2_2_2_wgs_96_tpt_96_halfLds_dp_ip_CI_sbrr_dirReg.kd
    .uniform_work_group_size: 1
    .uses_dynamic_stack: false
    .vgpr_count:     248
    .vgpr_spill_count: 0
    .wavefront_size: 64
amdhsa.target:   amdgcn-amd-amdhsa--gfx906
amdhsa.version:
  - 1
  - 2
...

	.end_amdgpu_metadata
